;; amdgpu-corpus repo=ROCm/rocFFT kind=compiled arch=gfx950 opt=O3
	.text
	.amdgcn_target "amdgcn-amd-amdhsa--gfx950"
	.amdhsa_code_object_version 6
	.protected	fft_rtc_fwd_len3240_factors_3_3_10_6_6_wgs_108_tpt_108_halfLds_dp_op_CI_CI_unitstride_sbrr_dirReg ; -- Begin function fft_rtc_fwd_len3240_factors_3_3_10_6_6_wgs_108_tpt_108_halfLds_dp_op_CI_CI_unitstride_sbrr_dirReg
	.globl	fft_rtc_fwd_len3240_factors_3_3_10_6_6_wgs_108_tpt_108_halfLds_dp_op_CI_CI_unitstride_sbrr_dirReg
	.p2align	8
	.type	fft_rtc_fwd_len3240_factors_3_3_10_6_6_wgs_108_tpt_108_halfLds_dp_op_CI_CI_unitstride_sbrr_dirReg,@function
fft_rtc_fwd_len3240_factors_3_3_10_6_6_wgs_108_tpt_108_halfLds_dp_op_CI_CI_unitstride_sbrr_dirReg: ; @fft_rtc_fwd_len3240_factors_3_3_10_6_6_wgs_108_tpt_108_halfLds_dp_op_CI_CI_unitstride_sbrr_dirReg
; %bb.0:
	s_load_dwordx4 s[4:7], s[0:1], 0x58
	s_load_dwordx4 s[8:11], s[0:1], 0x0
	;; [unrolled: 1-line block ×3, first 2 shown]
	v_mul_u32_u24_e32 v1, 0x25f, v0
	v_add_u32_sdwa v6, s2, v1 dst_sel:DWORD dst_unused:UNUSED_PAD src0_sel:DWORD src1_sel:WORD_1
	v_mov_b32_e32 v2, 0
	s_waitcnt lgkmcnt(0)
	v_cmp_lt_u64_e64 s[2:3], s[10:11], 2
	v_mov_b32_e32 v7, v2
	s_and_b64 vcc, exec, s[2:3]
	v_mov_b64_e32 v[4:5], 0
	s_cbranch_vccnz .LBB0_8
; %bb.1:
	s_load_dwordx2 s[2:3], s[0:1], 0x10
	s_add_u32 s16, s14, 8
	s_addc_u32 s17, s15, 0
	s_add_u32 s18, s12, 8
	s_addc_u32 s19, s13, 0
	s_waitcnt lgkmcnt(0)
	s_add_u32 s20, s2, 8
	v_mov_b64_e32 v[4:5], 0
	s_addc_u32 s21, s3, 0
	s_mov_b64 s[22:23], 1
	v_mov_b64_e32 v[154:155], v[4:5]
.LBB0_2:                                ; =>This Inner Loop Header: Depth=1
	s_load_dwordx2 s[24:25], s[20:21], 0x0
                                        ; implicit-def: $vgpr156_vgpr157
	s_waitcnt lgkmcnt(0)
	v_or_b32_e32 v3, s25, v7
	v_cmp_ne_u64_e32 vcc, 0, v[2:3]
	s_and_saveexec_b64 s[2:3], vcc
	s_xor_b64 s[26:27], exec, s[2:3]
	s_cbranch_execz .LBB0_4
; %bb.3:                                ;   in Loop: Header=BB0_2 Depth=1
	v_cvt_f32_u32_e32 v1, s24
	v_cvt_f32_u32_e32 v3, s25
	s_sub_u32 s2, 0, s24
	s_subb_u32 s3, 0, s25
	v_fmac_f32_e32 v1, 0x4f800000, v3
	v_rcp_f32_e32 v1, v1
	s_nop 0
	v_mul_f32_e32 v1, 0x5f7ffffc, v1
	v_mul_f32_e32 v3, 0x2f800000, v1
	v_trunc_f32_e32 v3, v3
	v_fmac_f32_e32 v1, 0xcf800000, v3
	v_cvt_u32_f32_e32 v3, v3
	v_cvt_u32_f32_e32 v1, v1
	v_mul_lo_u32 v8, s2, v3
	v_mul_hi_u32 v10, s2, v1
	v_mul_lo_u32 v9, s3, v1
	v_add_u32_e32 v10, v10, v8
	v_mul_lo_u32 v12, s2, v1
	v_add_u32_e32 v13, v10, v9
	v_mul_hi_u32 v8, v1, v12
	v_mul_hi_u32 v11, v1, v13
	v_mul_lo_u32 v10, v1, v13
	v_mov_b32_e32 v9, v2
	v_lshl_add_u64 v[8:9], v[8:9], 0, v[10:11]
	v_mul_hi_u32 v11, v3, v12
	v_mul_lo_u32 v12, v3, v12
	v_add_co_u32_e32 v8, vcc, v8, v12
	v_mul_hi_u32 v10, v3, v13
	s_nop 0
	v_addc_co_u32_e32 v8, vcc, v9, v11, vcc
	v_mov_b32_e32 v9, v2
	s_nop 0
	v_addc_co_u32_e32 v11, vcc, 0, v10, vcc
	v_mul_lo_u32 v10, v3, v13
	v_lshl_add_u64 v[8:9], v[8:9], 0, v[10:11]
	v_add_co_u32_e32 v1, vcc, v1, v8
	v_mul_lo_u32 v10, s2, v1
	s_nop 0
	v_addc_co_u32_e32 v3, vcc, v3, v9, vcc
	v_mul_lo_u32 v8, s2, v3
	v_mul_hi_u32 v9, s2, v1
	v_add_u32_e32 v8, v9, v8
	v_mul_lo_u32 v9, s3, v1
	v_add_u32_e32 v12, v8, v9
	v_mul_hi_u32 v14, v3, v10
	v_mul_lo_u32 v15, v3, v10
	v_mul_hi_u32 v9, v1, v12
	v_mul_lo_u32 v8, v1, v12
	v_mul_hi_u32 v10, v1, v10
	v_mov_b32_e32 v11, v2
	v_lshl_add_u64 v[8:9], v[10:11], 0, v[8:9]
	v_add_co_u32_e32 v8, vcc, v8, v15
	v_mul_hi_u32 v13, v3, v12
	s_nop 0
	v_addc_co_u32_e32 v8, vcc, v9, v14, vcc
	v_mul_lo_u32 v10, v3, v12
	s_nop 0
	v_addc_co_u32_e32 v11, vcc, 0, v13, vcc
	v_mov_b32_e32 v9, v2
	v_lshl_add_u64 v[8:9], v[8:9], 0, v[10:11]
	v_add_co_u32_e32 v1, vcc, v1, v8
	v_mul_hi_u32 v10, v6, v1
	s_nop 0
	v_addc_co_u32_e32 v3, vcc, v3, v9, vcc
	v_mad_u64_u32 v[8:9], s[2:3], v6, v3, 0
	v_mov_b32_e32 v11, v2
	v_lshl_add_u64 v[8:9], v[10:11], 0, v[8:9]
	v_mad_u64_u32 v[12:13], s[2:3], v7, v1, 0
	v_add_co_u32_e32 v1, vcc, v8, v12
	v_mad_u64_u32 v[10:11], s[2:3], v7, v3, 0
	s_nop 0
	v_addc_co_u32_e32 v8, vcc, v9, v13, vcc
	v_mov_b32_e32 v9, v2
	s_nop 0
	v_addc_co_u32_e32 v11, vcc, 0, v11, vcc
	v_lshl_add_u64 v[8:9], v[8:9], 0, v[10:11]
	v_mul_lo_u32 v1, s25, v8
	v_mul_lo_u32 v3, s24, v9
	v_mad_u64_u32 v[10:11], s[2:3], s24, v8, 0
	v_add3_u32 v1, v11, v3, v1
	v_sub_u32_e32 v3, v7, v1
	v_mov_b32_e32 v11, s25
	v_sub_co_u32_e32 v14, vcc, v6, v10
	v_lshl_add_u64 v[12:13], v[8:9], 0, 1
	s_nop 0
	v_subb_co_u32_e64 v3, s[2:3], v3, v11, vcc
	v_subrev_co_u32_e64 v10, s[2:3], s24, v14
	v_subb_co_u32_e32 v1, vcc, v7, v1, vcc
	s_nop 0
	v_subbrev_co_u32_e64 v3, s[2:3], 0, v3, s[2:3]
	v_cmp_le_u32_e64 s[2:3], s25, v3
	v_cmp_le_u32_e32 vcc, s25, v1
	s_nop 0
	v_cndmask_b32_e64 v11, 0, -1, s[2:3]
	v_cmp_le_u32_e64 s[2:3], s24, v10
	s_nop 1
	v_cndmask_b32_e64 v10, 0, -1, s[2:3]
	v_cmp_eq_u32_e64 s[2:3], s25, v3
	s_nop 1
	v_cndmask_b32_e64 v3, v11, v10, s[2:3]
	v_lshl_add_u64 v[10:11], v[8:9], 0, 2
	v_cmp_ne_u32_e64 s[2:3], 0, v3
	s_nop 1
	v_cndmask_b32_e64 v3, v13, v11, s[2:3]
	v_cndmask_b32_e64 v11, 0, -1, vcc
	v_cmp_le_u32_e32 vcc, s24, v14
	s_nop 1
	v_cndmask_b32_e64 v13, 0, -1, vcc
	v_cmp_eq_u32_e32 vcc, s25, v1
	s_nop 1
	v_cndmask_b32_e32 v1, v11, v13, vcc
	v_cmp_ne_u32_e32 vcc, 0, v1
	v_cndmask_b32_e64 v1, v12, v10, s[2:3]
	s_nop 0
	v_cndmask_b32_e32 v157, v9, v3, vcc
	v_cndmask_b32_e32 v156, v8, v1, vcc
.LBB0_4:                                ;   in Loop: Header=BB0_2 Depth=1
	s_andn2_saveexec_b64 s[2:3], s[26:27]
	s_cbranch_execz .LBB0_6
; %bb.5:                                ;   in Loop: Header=BB0_2 Depth=1
	v_cvt_f32_u32_e32 v1, s24
	s_sub_i32 s26, 0, s24
	v_mov_b32_e32 v157, v2
	v_rcp_iflag_f32_e32 v1, v1
	s_nop 0
	v_mul_f32_e32 v1, 0x4f7ffffe, v1
	v_cvt_u32_f32_e32 v1, v1
	v_mul_lo_u32 v3, s26, v1
	v_mul_hi_u32 v3, v1, v3
	v_add_u32_e32 v1, v1, v3
	v_mul_hi_u32 v1, v6, v1
	v_mul_lo_u32 v3, v1, s24
	v_sub_u32_e32 v3, v6, v3
	v_add_u32_e32 v8, 1, v1
	v_subrev_u32_e32 v9, s24, v3
	v_cmp_le_u32_e32 vcc, s24, v3
	s_nop 1
	v_cndmask_b32_e32 v3, v3, v9, vcc
	v_cndmask_b32_e32 v1, v1, v8, vcc
	v_add_u32_e32 v8, 1, v1
	v_cmp_le_u32_e32 vcc, s24, v3
	s_nop 1
	v_cndmask_b32_e32 v156, v1, v8, vcc
.LBB0_6:                                ;   in Loop: Header=BB0_2 Depth=1
	s_or_b64 exec, exec, s[2:3]
	v_mad_u64_u32 v[8:9], s[2:3], v156, s24, 0
	s_load_dwordx2 s[2:3], s[18:19], 0x0
	v_mul_lo_u32 v1, v157, s24
	v_mul_lo_u32 v3, v156, s25
	s_load_dwordx2 s[24:25], s[16:17], 0x0
	s_add_u32 s22, s22, 1
	v_add3_u32 v1, v9, v3, v1
	v_sub_co_u32_e32 v3, vcc, v6, v8
	s_addc_u32 s23, s23, 0
	s_nop 0
	v_subb_co_u32_e32 v1, vcc, v7, v1, vcc
	s_add_u32 s16, s16, 8
	s_waitcnt lgkmcnt(0)
	v_mul_lo_u32 v6, s2, v1
	v_mul_lo_u32 v7, s3, v3
	v_mad_u64_u32 v[4:5], s[2:3], s2, v3, v[4:5]
	s_addc_u32 s17, s17, 0
	v_add3_u32 v5, v7, v5, v6
	v_mul_lo_u32 v1, s24, v1
	v_mul_lo_u32 v6, s25, v3
	v_mad_u64_u32 v[154:155], s[2:3], s24, v3, v[154:155]
	s_add_u32 s18, s18, 8
	v_add3_u32 v155, v6, v155, v1
	s_addc_u32 s19, s19, 0
	v_mov_b64_e32 v[6:7], s[10:11]
	s_add_u32 s20, s20, 8
	v_cmp_ge_u64_e32 vcc, s[22:23], v[6:7]
	s_addc_u32 s21, s21, 0
	s_cbranch_vccnz .LBB0_9
; %bb.7:                                ;   in Loop: Header=BB0_2 Depth=1
	v_mov_b64_e32 v[6:7], v[156:157]
	s_branch .LBB0_2
.LBB0_8:
	v_mov_b64_e32 v[154:155], v[4:5]
	v_mov_b64_e32 v[156:157], v[6:7]
.LBB0_9:
	s_load_dwordx2 s[2:3], s[0:1], 0x28
	s_lshl_b64 s[16:17], s[10:11], 3
	s_add_u32 s10, s14, s16
	s_addc_u32 s11, s15, s17
                                        ; implicit-def: $vgpr172
	s_waitcnt lgkmcnt(0)
	v_cmp_gt_u64_e64 s[0:1], s[2:3], v[156:157]
	v_cmp_le_u64_e32 vcc, s[2:3], v[156:157]
	s_and_saveexec_b64 s[2:3], vcc
	s_xor_b64 s[2:3], exec, s[2:3]
; %bb.10:
	s_mov_b32 s14, 0x25ed098
	v_mul_hi_u32 v1, v0, s14
	v_mul_u32_u24_e32 v1, 0x6c, v1
	v_sub_u32_e32 v172, v0, v1
                                        ; implicit-def: $vgpr0
                                        ; implicit-def: $vgpr4_vgpr5
; %bb.11:
	s_or_saveexec_b64 s[2:3], s[2:3]
                                        ; implicit-def: $vgpr136_vgpr137
                                        ; implicit-def: $vgpr116_vgpr117
                                        ; implicit-def: $vgpr86_vgpr87
                                        ; implicit-def: $vgpr132_vgpr133
                                        ; implicit-def: $vgpr108_vgpr109
                                        ; implicit-def: $vgpr96_vgpr97
                                        ; implicit-def: $vgpr124_vgpr125
                                        ; implicit-def: $vgpr120_vgpr121
                                        ; implicit-def: $vgpr82_vgpr83
                                        ; implicit-def: $vgpr112_vgpr113
                                        ; implicit-def: $vgpr140_vgpr141
                                        ; implicit-def: $vgpr92_vgpr93
                                        ; implicit-def: $vgpr128_vgpr129
                                        ; implicit-def: $vgpr148_vgpr149
                                        ; implicit-def: $vgpr100_vgpr101
                                        ; implicit-def: $vgpr144_vgpr145
                                        ; implicit-def: $vgpr40_vgpr41
                                        ; implicit-def: $vgpr104_vgpr105
                                        ; implicit-def: $vgpr32_vgpr33
                                        ; implicit-def: $vgpr24_vgpr25
                                        ; implicit-def: $vgpr20_vgpr21
                                        ; implicit-def: $vgpr44_vgpr45
                                        ; implicit-def: $vgpr28_vgpr29
                                        ; implicit-def: $vgpr12_vgpr13
                                        ; implicit-def: $vgpr36_vgpr37
                                        ; implicit-def: $vgpr48_vgpr49
                                        ; implicit-def: $vgpr8_vgpr9
                                        ; implicit-def: $vgpr152_vgpr153
                                        ; implicit-def: $vgpr16_vgpr17
                                        ; implicit-def: $vgpr2_vgpr3
	s_xor_b64 exec, exec, s[2:3]
	s_cbranch_execz .LBB0_13
; %bb.12:
	s_add_u32 s12, s12, s16
	s_addc_u32 s13, s13, s17
	s_load_dwordx2 s[12:13], s[12:13], 0x0
	s_mov_b32 s14, 0x25ed098
	s_waitcnt lgkmcnt(0)
	v_mul_lo_u32 v1, s13, v156
	v_mul_lo_u32 v6, s12, v157
	v_mad_u64_u32 v[2:3], s[12:13], s12, v156, 0
	v_add3_u32 v3, v3, v6, v1
	v_mul_hi_u32 v1, v0, s14
	v_mul_u32_u24_e32 v1, 0x6c, v1
	v_sub_u32_e32 v172, v0, v1
	v_lshl_add_u64 v[0:1], v[2:3], 4, s[4:5]
	v_lshl_add_u64 v[0:1], v[4:5], 4, v[0:1]
	v_lshlrev_b32_e32 v2, 4, v172
	v_mov_b32_e32 v3, 0
	v_lshl_add_u64 v[34:35], v[0:1], 0, v[2:3]
	s_movk_i32 s4, 0x4000
	v_add_co_u32_e32 v4, vcc, s4, v34
	s_mov_b32 s4, 0x8000
	s_nop 0
	v_addc_co_u32_e32 v5, vcc, 0, v35, vcc
	v_add_co_u32_e32 v50, vcc, s4, v34
	s_movk_i32 s4, 0x5000
	s_nop 0
	v_addc_co_u32_e32 v51, vcc, 0, v35, vcc
	v_add_co_u32_e32 v36, vcc, s4, v34
	s_mov_b32 s4, 0x9000
	s_nop 0
	v_addc_co_u32_e32 v37, vcc, 0, v35, vcc
	v_add_co_u32_e32 v46, vcc, s4, v34
	s_movk_i32 s4, 0x1000
	s_nop 0
	v_addc_co_u32_e32 v47, vcc, 0, v35, vcc
	;; [unrolled: 8-line block ×3, first 2 shown]
	v_add_co_u32_e32 v56, vcc, s4, v34
	s_movk_i32 s4, 0x6000
	s_nop 0
	v_addc_co_u32_e32 v57, vcc, 0, v35, vcc
	v_add_co_u32_e32 v58, vcc, s4, v34
	s_movk_i32 s4, 0x7000
	s_nop 0
	v_addc_co_u32_e32 v59, vcc, 0, v35, vcc
	v_add_co_u32_e32 v60, vcc, s4, v34
	s_mov_b32 s4, 0xb000
	s_nop 0
	v_addc_co_u32_e32 v61, vcc, 0, v35, vcc
	v_add_co_u32_e32 v62, vcc, s4, v34
	s_movk_i32 s4, 0x3000
	s_nop 0
	v_addc_co_u32_e32 v63, vcc, 0, v35, vcc
	v_add_co_u32_e32 v64, vcc, s4, v34
	global_load_dwordx4 v[0:3], v[34:35], off
	global_load_dwordx4 v[6:9], v[34:35], off offset:1728
	global_load_dwordx4 v[14:17], v[4:5], off offset:896
	;; [unrolled: 1-line block ×3, first 2 shown]
	v_addc_co_u32_e32 v65, vcc, 0, v35, vcc
	v_add_co_u32_e32 v66, vcc, 0xc000, v34
	global_load_dwordx4 v[26:29], v[36:37], off offset:256
	global_load_dwordx4 v[22:25], v[36:37], off offset:1984
	global_load_dwordx4 v[18:21], v[52:53], off offset:1088
	global_load_dwordx4 v[30:33], v[46:47], off offset:2880
	global_load_dwordx4 v[42:45], v[46:47], off offset:1152
	global_load_dwordx4 v[38:41], v[36:37], off offset:3712
	v_addc_co_u32_e32 v67, vcc, 0, v35, vcc
	global_load_dwordx4 v[102:105], v[52:53], off offset:2816
	global_load_dwordx4 v[142:145], v[54:55], off offset:512
	;; [unrolled: 1-line block ×15, first 2 shown]
                                        ; kill: killed $vgpr58 killed $vgpr59
                                        ; kill: killed $vgpr4 killed $vgpr5
                                        ; kill: killed $vgpr56 killed $vgpr57
                                        ; kill: killed $vgpr54 killed $vgpr55
                                        ; kill: killed $vgpr52 killed $vgpr53
                                        ; kill: killed $vgpr60 killed $vgpr61
	global_load_dwordx4 v[114:117], v[50:51], off offset:64
	global_load_dwordx4 v[130:133], v[62:63], off offset:3328
	;; [unrolled: 1-line block ×3, first 2 shown]
                                        ; kill: killed $vgpr50 killed $vgpr51
                                        ; kill: killed $vgpr62 killed $vgpr63
	global_load_dwordx4 v[84:87], v[64:65], off offset:3264
	global_load_dwordx4 v[134:137], v[66:67], off offset:960
.LBB0_13:
	s_or_b64 exec, exec, s[2:3]
	s_waitcnt vmcnt(5)
	v_add_f64 v[50:51], v[46:47], v[6:7]
	v_add_f64 v[52:53], v[34:35], v[46:47]
	;; [unrolled: 1-line block ×3, first 2 shown]
	v_add_f64 v[168:169], v[46:47], -v[34:35]
	v_add_f64 v[46:47], v[150:151], v[14:15]
	s_mov_b32 s2, 0xe8584caa
	v_add_f64 v[54:55], v[48:49], -v[36:37]
	v_add_f64 v[4:5], v[36:37], v[48:49]
	v_add_f64 v[170:171], v[36:37], v[56:57]
	;; [unrolled: 1-line block ×3, first 2 shown]
	v_fmac_f64_e32 v[0:1], -0.5, v[46:47]
	s_mov_b32 s3, 0x3febb67a
	v_add_f64 v[46:47], v[16:17], -v[152:153]
	v_add_f64 v[36:37], v[150:151], v[36:37]
	v_mad_u32_u24 v201, v172, 24, 0
	v_fma_f64 v[48:49], s[2:3], v[46:47], v[0:1]
	v_fmac_f64_e32 v[6:7], -0.5, v[52:53]
	v_add_f64 v[34:35], v[34:35], v[50:51]
	ds_write2_b64 v201, v[36:37], v[48:49] offset1:1
	v_add_u32_e32 v202, 0xa20, v201
	v_fma_f64 v[36:37], s[2:3], v[54:55], v[6:7]
	s_mov_b32 s5, 0xbfebb67a
	s_mov_b32 s4, s2
	ds_write2_b64 v202, v[34:35], v[36:37] offset1:1
	v_fmac_f64_e32 v[0:1], s[4:5], v[46:47]
	v_add_f64 v[36:37], v[42:43], v[26:27]
	v_fmac_f64_e32 v[6:7], s[4:5], v[54:55]
	v_add_f64 v[34:35], v[26:27], v[10:11]
	v_fmac_f64_e32 v[10:11], -0.5, v[36:37]
	ds_write_b64 v201, v[0:1] offset:16
	ds_write_b64 v201, v[6:7] offset:2608
	v_add_u32_e32 v179, 0xd8, v172
	v_add_f64 v[0:1], v[28:29], -v[44:45]
	v_add_f64 v[34:35], v[42:43], v[34:35]
	v_mad_u32_u24 v203, v179, 24, 0
	v_fma_f64 v[6:7], s[2:3], v[0:1], v[10:11]
	ds_write2_b64 v203, v[34:35], v[6:7] offset1:1
	v_add_f64 v[6:7], v[30:31], v[22:23]
	v_fmac_f64_e32 v[10:11], s[4:5], v[0:1]
	v_add_f64 v[0:1], v[22:23], v[18:19]
	v_fmac_f64_e32 v[18:19], -0.5, v[6:7]
	v_add_u32_e32 v182, 0x144, v172
	v_add_f64 v[6:7], v[24:25], -v[32:33]
	v_add_f64 v[0:1], v[30:31], v[0:1]
	ds_write_b64 v203, v[10:11] offset:16
	v_mad_u32_u24 v204, v182, 24, 0
	v_fma_f64 v[10:11], s[2:3], v[6:7], v[18:19]
	v_fmac_f64_e32 v[18:19], s[4:5], v[6:7]
	v_add_f64 v[6:7], v[142:143], v[38:39]
	ds_write2_b64 v204, v[0:1], v[10:11] offset1:1
	v_add_f64 v[0:1], v[38:39], v[102:103]
	v_fmac_f64_e32 v[102:103], -0.5, v[6:7]
	v_add_u32_e32 v186, 0x1b0, v172
	v_add_f64 v[6:7], v[40:41], -v[144:145]
	v_add_f64 v[0:1], v[142:143], v[0:1]
	v_mad_u32_u24 v185, v186, 24, 0
	v_fma_f64 v[10:11], s[2:3], v[6:7], v[102:103]
	v_fmac_f64_e32 v[102:103], s[4:5], v[6:7]
	v_add_f64 v[6:7], v[126:127], v[146:147]
	ds_write_b64 v204, v[18:19] offset:16
	ds_write2_b64 v185, v[0:1], v[10:11] offset1:1
	v_add_f64 v[0:1], v[146:147], v[98:99]
	v_fmac_f64_e32 v[98:99], -0.5, v[6:7]
	v_add_u32_e32 v200, 0x21c, v172
	v_add_f64 v[6:7], v[148:149], -v[128:129]
	v_add_f64 v[0:1], v[126:127], v[0:1]
	v_mad_u32_u24 v173, v200, 24, 0
	v_fma_f64 v[10:11], s[2:3], v[6:7], v[98:99]
	v_fmac_f64_e32 v[98:99], s[4:5], v[6:7]
	v_add_f64 v[6:7], v[110:111], v[138:139]
	ds_write_b64 v185, v[102:103] offset:16
	ds_write2_b64 v173, v[0:1], v[10:11] offset1:1
	v_add_f64 v[0:1], v[138:139], v[90:91]
	v_fmac_f64_e32 v[90:91], -0.5, v[6:7]
	v_add_u32_e32 v199, 0x288, v172
	v_add_f64 v[6:7], v[140:141], -v[112:113]
	v_add_f64 v[0:1], v[110:111], v[0:1]
	ds_write_b64 v173, v[98:99] offset:16
	v_mad_u32_u24 v98, v199, 24, 0
	v_fma_f64 v[10:11], s[2:3], v[6:7], v[90:91]
	v_fmac_f64_e32 v[90:91], s[4:5], v[6:7]
	v_add_f64 v[6:7], v[122:123], v[118:119]
	ds_write2_b64 v98, v[0:1], v[10:11] offset1:1
	v_add_f64 v[0:1], v[118:119], v[80:81]
	v_fmac_f64_e32 v[80:81], -0.5, v[6:7]
	v_add_u32_e32 v198, 0x2f4, v172
	v_add_f64 v[6:7], v[120:121], -v[124:125]
	v_add_f64 v[0:1], v[122:123], v[0:1]
	v_mad_u32_u24 v99, v198, 24, 0
	v_fma_f64 v[10:11], s[2:3], v[6:7], v[80:81]
	v_fmac_f64_e32 v[80:81], s[4:5], v[6:7]
	s_waitcnt vmcnt(3)
	v_add_f64 v[6:7], v[130:131], v[106:107]
	ds_write_b64 v98, v[90:91] offset:16
	ds_write2_b64 v99, v[0:1], v[10:11] offset1:1
	s_waitcnt vmcnt(2)
	v_add_f64 v[0:1], v[106:107], v[94:95]
	v_fmac_f64_e32 v[94:95], -0.5, v[6:7]
	v_add_f64 v[6:7], v[108:109], -v[132:133]
	v_add_f64 v[0:1], v[130:131], v[0:1]
	v_add_u32_e32 v205, 0x5100, v201
	v_fma_f64 v[10:11], s[2:3], v[6:7], v[94:95]
	ds_write_b64 v99, v[80:81] offset:16
	ds_write2_b64 v205, v[0:1], v[10:11] offset1:1
	s_waitcnt vmcnt(0)
	v_add_f64 v[10:11], v[134:135], v[114:115]
	v_add_f64 v[0:1], v[114:115], v[84:85]
	v_fmac_f64_e32 v[84:85], -0.5, v[10:11]
	v_add_f64 v[10:11], v[116:117], -v[136:137]
	v_add_f64 v[0:1], v[134:135], v[0:1]
	v_add_u32_e32 v206, 0x5b20, v201
	v_fma_f64 v[18:19], s[2:3], v[10:11], v[84:85]
	ds_write2_b64 v206, v[0:1], v[18:19] offset1:1
	v_lshlrev_b32_e32 v0, 4, v199
	v_fmac_f64_e32 v[8:9], -0.5, v[4:5]
	v_sub_u32_e32 v196, v98, v0
	v_lshlrev_b32_e32 v0, 4, v198
	v_fmac_f64_e32 v[94:95], s[4:5], v[6:7]
	v_fmac_f64_e32 v[84:85], s[4:5], v[10:11]
	v_sub_u32_e32 v197, v99, v0
	v_lshl_add_u32 v174, v172, 3, 0
	v_lshl_add_u32 v180, v179, 3, 0
	v_lshlrev_b32_e32 v190, 4, v186
	v_lshlrev_b32_e32 v192, 4, v200
	v_fma_f64 v[0:1], s[4:5], v[168:169], v[8:9]
	v_add_f64 v[10:11], v[152:153], v[16:17]
	s_load_dwordx2 s[10:11], s[10:11], 0x0
	ds_write_b64 v201, v[94:95] offset:20752
	ds_write_b64 v201, v[84:85] offset:23344
	s_waitcnt lgkmcnt(0)
	s_barrier
	v_add_u32_e32 v176, 0x2000, v174
	v_add_u32_e32 v175, 0x4000, v174
	;; [unrolled: 1-line block ×4, first 2 shown]
	v_lshl_add_u32 v181, v182, 3, 0
	v_sub_u32_e32 v194, v185, v190
	v_add_u32_e32 v188, 0x2c00, v174
	v_add_u32_e32 v189, 0x5000, v174
	v_sub_u32_e32 v195, v173, v192
	v_add_u32_e32 v178, 0x3400, v174
	v_add_u32_e32 v177, 0x5400, v174
	;; [unrolled: 1-line block ×5, first 2 shown]
	ds_read_b64 v[166:167], v180
	ds_read_b64 v[164:165], v181
	;; [unrolled: 1-line block ×6, first 2 shown]
	ds_read2_b64 v[34:37], v174 offset1:108
	ds_read2_b64 v[88:91], v176 offset0:56 offset1:164
	ds_read2_b64 v[78:81], v175 offset0:112 offset1:220
	;; [unrolled: 1-line block ×11, first 2 shown]
	s_waitcnt lgkmcnt(0)
	s_barrier
	ds_write2_b64 v202, v[170:171], v[0:1] offset1:1
	v_add_f64 v[0:1], v[16:17], v[2:3]
	v_add_f64 v[14:15], v[14:15], -v[150:151]
	v_add_f64 v[18:19], v[44:45], v[28:29]
	v_fmac_f64_e32 v[2:3], -0.5, v[10:11]
	v_add_f64 v[0:1], v[152:153], v[0:1]
	v_add_f64 v[16:17], v[28:29], v[12:13]
	v_add_f64 v[26:27], v[26:27], -v[42:43]
	v_fma_f64 v[10:11], s[4:5], v[14:15], v[2:3]
	v_fmac_f64_e32 v[2:3], s[2:3], v[14:15]
	v_fmac_f64_e32 v[12:13], -0.5, v[18:19]
	v_add_f64 v[16:17], v[44:45], v[16:17]
	ds_write2_b64 v201, v[0:1], v[10:11] offset1:1
	ds_write_b64 v201, v[2:3] offset:16
	v_fmac_f64_e32 v[8:9], s[2:3], v[168:169]
	v_fma_f64 v[0:1], s[4:5], v[26:27], v[12:13]
	v_add_f64 v[2:3], v[32:33], v[24:25]
	ds_write_b64 v201, v[8:9] offset:2608
	ds_write2_b64 v203, v[16:17], v[0:1] offset1:1
	v_add_f64 v[0:1], v[24:25], v[20:21]
	v_add_f64 v[8:9], v[22:23], -v[30:31]
	v_fmac_f64_e32 v[20:21], -0.5, v[2:3]
	v_fmac_f64_e32 v[12:13], s[2:3], v[26:27]
	v_add_f64 v[0:1], v[32:33], v[0:1]
	v_fma_f64 v[2:3], s[4:5], v[8:9], v[20:21]
	ds_write_b64 v203, v[12:13] offset:16
	ds_write2_b64 v204, v[0:1], v[2:3] offset1:1
	v_add_f64 v[2:3], v[144:145], v[40:41]
	v_fmac_f64_e32 v[20:21], s[2:3], v[8:9]
	v_add_f64 v[0:1], v[40:41], v[104:105]
	v_add_f64 v[8:9], v[38:39], -v[142:143]
	v_add_f64 v[12:13], v[128:129], v[148:149]
	v_fmac_f64_e32 v[104:105], -0.5, v[2:3]
	v_add_f64 v[0:1], v[144:145], v[0:1]
	v_add_f64 v[10:11], v[148:149], v[100:101]
	v_add_f64 v[14:15], v[146:147], -v[126:127]
	v_add_f64 v[18:19], v[112:113], v[140:141]
	v_fma_f64 v[2:3], s[4:5], v[8:9], v[104:105]
	v_fmac_f64_e32 v[100:101], -0.5, v[12:13]
	ds_write_b64 v204, v[20:21] offset:16
	v_add_f64 v[10:11], v[128:129], v[10:11]
	v_add_f64 v[16:17], v[140:141], v[92:93]
	v_add_f64 v[20:21], v[138:139], -v[110:111]
	v_add_f64 v[24:25], v[124:125], v[120:121]
	ds_write2_b64 v185, v[0:1], v[2:3] offset1:1
	v_fmac_f64_e32 v[104:105], s[2:3], v[8:9]
	v_fma_f64 v[0:1], s[4:5], v[14:15], v[100:101]
	v_fmac_f64_e32 v[92:93], -0.5, v[18:19]
	v_add_f64 v[16:17], v[112:113], v[16:17]
	v_add_f64 v[22:23], v[120:121], v[82:83]
	v_add_f64 v[26:27], v[118:119], -v[122:123]
	v_add_f64 v[30:31], v[132:133], v[108:109]
	v_add_f64 v[40:41], v[136:137], v[116:117]
	ds_write_b64 v185, v[104:105] offset:16
	ds_write2_b64 v173, v[10:11], v[0:1] offset1:1
	v_fmac_f64_e32 v[100:101], s[2:3], v[14:15]
	v_fma_f64 v[0:1], s[4:5], v[20:21], v[92:93]
	v_fmac_f64_e32 v[82:83], -0.5, v[24:25]
	v_add_f64 v[28:29], v[108:109], v[96:97]
	v_add_f64 v[32:33], v[106:107], -v[130:131]
	v_add_f64 v[38:39], v[116:117], v[86:87]
	v_add_f64 v[42:43], v[114:115], -v[134:135]
	ds_write_b64 v173, v[100:101] offset:16
	ds_write2_b64 v98, v[16:17], v[0:1] offset1:1
	v_fmac_f64_e32 v[92:93], s[2:3], v[20:21]
	v_fma_f64 v[0:1], s[4:5], v[26:27], v[82:83]
	v_fmac_f64_e32 v[96:97], -0.5, v[30:31]
	v_fmac_f64_e32 v[86:87], -0.5, v[40:41]
	s_movk_i32 s12, 0xab
	v_add_f64 v[22:23], v[124:125], v[22:23]
	v_add_f64 v[28:29], v[132:133], v[28:29]
	;; [unrolled: 1-line block ×3, first 2 shown]
	v_fmac_f64_e32 v[82:83], s[2:3], v[26:27]
	v_fma_f64 v[2:3], s[4:5], v[32:33], v[96:97]
	v_fmac_f64_e32 v[96:97], s[2:3], v[32:33]
	v_fma_f64 v[8:9], s[4:5], v[42:43], v[86:87]
	v_fmac_f64_e32 v[86:87], s[2:3], v[42:43]
	ds_write_b64 v98, v[92:93] offset:16
	ds_write2_b64 v99, v[22:23], v[0:1] offset1:1
	ds_write_b64 v99, v[82:83] offset:16
	ds_write2_b64 v205, v[28:29], v[2:3] offset1:1
	;; [unrolled: 2-line block ×3, first 2 shown]
	ds_write_b64 v201, v[86:87] offset:23344
	v_mul_lo_u16_sdwa v0, v172, s12 dst_sel:DWORD dst_unused:UNUSED_PAD src0_sel:BYTE_0 src1_sel:DWORD
	v_add_u32_e32 v168, 0x6c, v172
	v_lshrrev_b16_e32 v114, 9, v0
	v_mul_lo_u16_sdwa v8, v168, s12 dst_sel:DWORD dst_unused:UNUSED_PAD src0_sel:BYTE_0 src1_sel:DWORD
	v_mul_lo_u16_e32 v0, 3, v114
	v_lshrrev_b16_e32 v112, 9, v8
	v_sub_u16_e32 v115, v172, v0
	v_mov_b32_e32 v170, 5
	v_mul_lo_u16_e32 v8, 3, v112
	v_lshlrev_b32_sdwa v20, v170, v115 dst_sel:DWORD dst_unused:UNUSED_PAD src0_sel:DWORD src1_sel:BYTE_0
	v_sub_u16_e32 v113, v168, v8
	s_waitcnt lgkmcnt(0)
	s_barrier
	global_load_dwordx4 v[0:3], v20, s[8:9]
	v_lshlrev_b32_sdwa v21, v170, v113 dst_sel:DWORD dst_unused:UNUSED_PAD src0_sel:DWORD src1_sel:BYTE_0
	global_load_dwordx4 v[16:19], v21, s[8:9]
	global_load_dwordx4 v[12:15], v20, s[8:9] offset:16
	global_load_dwordx4 v[8:11], v21, s[8:9] offset:16
	v_add_u32_e32 v20, 0x360, v172
	s_mov_b32 s12, 0xaaab
	v_mul_u32_u24_sdwa v21, v20, s12 dst_sel:DWORD dst_unused:UNUSED_PAD src0_sel:WORD_0 src1_sel:DWORD
	v_lshrrev_b32_e32 v108, 17, v21
	v_add_u32_e32 v24, 0x3cc, v172
	v_mul_lo_u16_e32 v21, 3, v108
	v_mul_u32_u24_sdwa v25, v24, s12 dst_sel:DWORD dst_unused:UNUSED_PAD src0_sel:WORD_0 src1_sel:DWORD
	v_sub_u16_e32 v109, v20, v21
	v_lshrrev_b32_e32 v110, 17, v25
	v_lshlrev_b32_e32 v28, 5, v109
	v_mul_lo_u16_e32 v25, 3, v110
	global_load_dwordx4 v[20:23], v28, s[8:9]
	v_sub_u16_e32 v111, v24, v25
	v_lshlrev_b32_e32 v32, 5, v111
	global_load_dwordx4 v[24:27], v32, s[8:9]
	s_nop 0
	global_load_dwordx4 v[28:31], v28, s[8:9] offset:16
	s_nop 0
	global_load_dwordx4 v[38:41], v32, s[8:9] offset:16
	v_mul_u32_u24_sdwa v32, v179, s12 dst_sel:DWORD dst_unused:UNUSED_PAD src0_sel:WORD_0 src1_sel:DWORD
	v_lshrrev_b32_e32 v145, 17, v32
	v_mul_lo_u16_e32 v32, 3, v145
	v_mul_u32_u24_sdwa v33, v182, s12 dst_sel:DWORD dst_unused:UNUSED_PAD src0_sel:WORD_0 src1_sel:DWORD
	v_sub_u16_e32 v144, v179, v32
	v_lshrrev_b32_e32 v171, 17, v33
	v_lshlrev_b32_e32 v32, 5, v144
	v_mul_lo_u16_e32 v33, 3, v171
	global_load_dwordx4 v[42:45], v32, s[8:9]
	v_sub_u16_e32 v216, v182, v33
	v_lshlrev_b32_e32 v33, 5, v216
	global_load_dwordx4 v[82:85], v33, s[8:9]
	global_load_dwordx4 v[92:95], v32, s[8:9] offset:16
	global_load_dwordx4 v[96:99], v33, s[8:9] offset:16
	v_mul_u32_u24_sdwa v32, v186, s12 dst_sel:DWORD dst_unused:UNUSED_PAD src0_sel:WORD_0 src1_sel:DWORD
	v_lshrrev_b32_e32 v217, 17, v32
	v_mul_lo_u16_e32 v32, 3, v217
	v_mul_u32_u24_sdwa v33, v200, s12 dst_sel:DWORD dst_unused:UNUSED_PAD src0_sel:WORD_0 src1_sel:DWORD
	v_sub_u16_e32 v218, v186, v32
	v_lshrrev_b32_e32 v219, 17, v33
	v_lshlrev_b32_e32 v32, 5, v218
	v_mul_lo_u16_e32 v33, 3, v219
	global_load_dwordx4 v[132:135], v32, s[8:9]
	v_sub_u16_e32 v220, v200, v33
	v_lshlrev_b32_e32 v33, 5, v220
	global_load_dwordx4 v[138:141], v33, s[8:9]
	global_load_dwordx4 v[146:149], v32, s[8:9] offset:16
	v_mul_u32_u24_sdwa v32, v199, s12 dst_sel:DWORD dst_unused:UNUSED_PAD src0_sel:WORD_0 src1_sel:DWORD
	v_lshrrev_b32_e32 v221, 17, v32
	v_mul_lo_u16_e32 v32, 3, v221
	v_sub_u16_e32 v222, v199, v32
	global_load_dwordx4 v[150:153], v33, s[8:9] offset:16
	v_lshlrev_b32_e32 v86, 5, v222
	global_load_dwordx4 v[200:203], v86, s[8:9]
	v_mul_u32_u24_sdwa v32, v198, s12 dst_sel:DWORD dst_unused:UNUSED_PAD src0_sel:WORD_0 src1_sel:DWORD
	v_lshrrev_b32_e32 v223, 17, v32
	v_mul_lo_u16_e32 v32, 3, v223
	v_sub_u16_e32 v224, v198, v32
	v_lshlrev_b32_e32 v87, 5, v224
	global_load_dwordx4 v[204:207], v87, s[8:9]
	global_load_dwordx4 v[208:211], v86, s[8:9] offset:16
	global_load_dwordx4 v[212:215], v87, s[8:9] offset:16
	ds_read2_b64 v[104:107], v176 offset0:56 offset1:164
	ds_read2_b64 v[116:119], v175 offset0:112 offset1:220
	v_mov_b32_e32 v169, 3
	s_mov_b32 s12, 0x5040100
	s_movk_i32 s13, 0x48
	s_mov_b32 s20, 0x134454ff
	s_mov_b32 s21, 0x3fee6f0e
	;; [unrolled: 1-line block ×10, first 2 shown]
	s_waitcnt vmcnt(19) lgkmcnt(1)
	v_mul_f64 v[32:33], v[104:105], v[2:3]
	v_fma_f64 v[32:33], v[88:89], v[0:1], -v[32:33]
	v_mul_f64 v[2:3], v[88:89], v[2:3]
	s_waitcnt vmcnt(18)
	v_mul_f64 v[88:89], v[90:91], v[18:19]
	v_fmac_f64_e32 v[2:3], v[104:105], v[0:1]
	v_mul_f64 v[0:1], v[106:107], v[18:19]
	v_fmac_f64_e32 v[88:89], v[106:107], v[16:17]
	ds_read2_b64 v[104:107], v193 offset0:24 offset1:132
	v_fma_f64 v[86:87], v[90:91], v[16:17], -v[0:1]
	s_waitcnt vmcnt(17) lgkmcnt(1)
	v_mul_f64 v[0:1], v[116:117], v[14:15]
	v_mul_f64 v[14:15], v[78:79], v[14:15]
	v_fma_f64 v[0:1], v[78:79], v[12:13], -v[0:1]
	v_fmac_f64_e32 v[14:15], v[116:117], v[12:13]
	s_waitcnt vmcnt(16)
	v_mul_f64 v[12:13], v[118:119], v[10:11]
	v_mul_f64 v[100:101], v[80:81], v[10:11]
	v_fma_f64 v[90:91], v[80:81], v[8:9], -v[12:13]
	v_fmac_f64_e32 v[100:101], v[118:119], v[8:9]
	s_waitcnt vmcnt(15) lgkmcnt(0)
	v_mul_f64 v[8:9], v[104:105], v[22:23]
	v_fma_f64 v[18:19], v[74:75], v[20:21], -v[8:9]
	v_mul_f64 v[78:79], v[74:75], v[22:23]
	ds_read2_b64 v[8:11], v187 offset0:80 offset1:188
	v_fmac_f64_e32 v[78:79], v[104:105], v[20:21]
	ds_read2_b64 v[20:23], v183 offset0:16 offset1:124
	s_waitcnt vmcnt(13)
	v_mul_f64 v[80:81], v[70:71], v[30:31]
	v_mul_f64 v[12:13], v[106:107], v[26:27]
	s_waitcnt lgkmcnt(1)
	v_mul_f64 v[16:17], v[8:9], v[30:31]
	v_fmac_f64_e32 v[80:81], v[8:9], v[28:29]
	s_waitcnt vmcnt(12)
	v_mul_f64 v[8:9], v[10:11], v[40:41]
	v_fma_f64 v[12:13], v[76:77], v[24:25], -v[12:13]
	v_mul_f64 v[74:75], v[76:77], v[26:27]
	v_fma_f64 v[76:77], v[70:71], v[28:29], -v[16:17]
	v_fma_f64 v[70:71], v[72:73], v[38:39], -v[8:9]
	v_mul_f64 v[72:73], v[72:73], v[40:41]
	s_waitcnt vmcnt(11) lgkmcnt(0)
	v_mul_f64 v[8:9], v[20:21], v[44:45]
	v_fmac_f64_e32 v[74:75], v[106:107], v[24:25]
	v_fmac_f64_e32 v[72:73], v[10:11], v[38:39]
	v_fma_f64 v[106:107], v[66:67], v[42:43], -v[8:9]
	v_mul_f64 v[116:117], v[66:67], v[44:45]
	ds_read2_b64 v[8:11], v184 offset0:72 offset1:180
	s_waitcnt vmcnt(10)
	v_mul_f64 v[16:17], v[22:23], v[84:85]
	v_mul_f64 v[84:85], v[68:69], v[84:85]
	v_fmac_f64_e32 v[116:117], v[20:21], v[42:43]
	v_fmac_f64_e32 v[84:85], v[22:23], v[82:83]
	ds_read2_b64 v[20:23], v188 offset0:104 offset1:212
	s_waitcnt vmcnt(9)
	v_mul_f64 v[136:137], v[62:63], v[94:95]
	v_fma_f64 v[104:105], v[68:69], v[82:83], -v[16:17]
	s_waitcnt lgkmcnt(1)
	v_mul_f64 v[16:17], v[8:9], v[94:95]
	v_fmac_f64_e32 v[136:137], v[8:9], v[92:93]
	s_waitcnt vmcnt(8)
	v_mul_f64 v[8:9], v[10:11], v[98:99]
	v_fma_f64 v[122:123], v[64:65], v[96:97], -v[8:9]
	v_mul_f64 v[126:127], v[64:65], v[98:99]
	s_waitcnt vmcnt(7) lgkmcnt(0)
	v_mul_f64 v[8:9], v[20:21], v[134:135]
	v_fma_f64 v[130:131], v[62:63], v[92:93], -v[16:17]
	v_fmac_f64_e32 v[126:127], v[10:11], v[96:97]
	v_fma_f64 v[94:95], v[58:59], v[132:133], -v[8:9]
	v_mul_f64 v[118:119], v[58:59], v[134:135]
	ds_read2_b64 v[8:11], v189 offset0:32 offset1:140
	s_waitcnt vmcnt(6)
	v_mul_f64 v[92:93], v[60:61], v[140:141]
	v_fmac_f64_e32 v[118:119], v[20:21], v[132:133]
	v_mul_f64 v[16:17], v[22:23], v[140:141]
	v_fmac_f64_e32 v[92:93], v[22:23], v[138:139]
	ds_read2_b64 v[20:23], v178 offset0:64 offset1:172
	v_fma_f64 v[68:69], v[60:61], v[138:139], -v[16:17]
	s_waitcnt vmcnt(5)
	v_mul_f64 v[138:139], v[54:55], v[148:149]
	s_waitcnt lgkmcnt(1)
	v_mul_f64 v[16:17], v[8:9], v[148:149]
	v_fmac_f64_e32 v[138:139], v[8:9], v[146:147]
	s_waitcnt vmcnt(4)
	v_mul_f64 v[8:9], v[10:11], v[152:153]
	v_fma_f64 v[124:125], v[56:57], v[150:151], -v[8:9]
	v_mul_f64 v[128:129], v[56:57], v[152:153]
	s_waitcnt vmcnt(3) lgkmcnt(0)
	v_mul_f64 v[8:9], v[20:21], v[202:203]
	v_fmac_f64_e32 v[128:129], v[10:11], v[150:151]
	v_fma_f64 v[96:97], v[50:51], v[200:201], -v[8:9]
	ds_read2_b64 v[8:11], v177 offset0:120 offset1:228
	v_fma_f64 v[132:133], v[54:55], v[146:147], -v[16:17]
	s_waitcnt vmcnt(2)
	v_mul_f64 v[16:17], v[22:23], v[206:207]
	s_waitcnt vmcnt(1)
	v_mul_f64 v[140:141], v[46:47], v[210:211]
	s_waitcnt vmcnt(0)
	v_mul_f64 v[66:67], v[48:49], v[214:215]
	v_fma_f64 v[60:61], v[52:53], v[204:205], -v[16:17]
	s_waitcnt lgkmcnt(0)
	v_mul_f64 v[16:17], v[8:9], v[210:211]
	v_fmac_f64_e32 v[140:141], v[8:9], v[208:209]
	v_mul_f64 v[8:9], v[10:11], v[214:215]
	v_fmac_f64_e32 v[66:67], v[10:11], v[212:213]
	v_add_f64 v[10:11], v[32:33], v[0:1]
	v_mul_f64 v[120:121], v[50:51], v[202:203]
	v_fma_f64 v[134:135], v[46:47], v[208:209], -v[16:17]
	v_fma_f64 v[64:65], v[48:49], v[212:213], -v[8:9]
	v_mul_u32_u24_e32 v8, 0x48, v114
	v_lshlrev_b32_sdwa v9, v169, v115 dst_sel:DWORD dst_unused:UNUSED_PAD src0_sel:DWORD src1_sel:BYTE_0
	v_fma_f64 v[10:11], -0.5, v[10:11], v[34:35]
	v_add_f64 v[16:17], v[2:3], -v[14:15]
	v_fmac_f64_e32 v[120:121], v[20:21], v[200:201]
	v_mul_f64 v[62:63], v[52:53], v[206:207]
	v_add3_u32 v153, 0, v8, v9
	v_add_f64 v[8:9], v[34:35], v[32:33]
	v_fma_f64 v[20:21], s[2:3], v[16:17], v[10:11]
	v_fmac_f64_e32 v[10:11], s[4:5], v[16:17]
	v_fmac_f64_e32 v[62:63], v[22:23], v[204:205]
	v_add_f64 v[8:9], v[8:9], v[0:1]
	ds_read_b64 v[82:83], v197
	ds_read_b64 v[98:99], v196
	;; [unrolled: 1-line block ×6, first 2 shown]
	ds_read2_b64 v[198:201], v174 offset1:108
	ds_read2_b64 v[56:59], v191 offset0:96 offset1:204
	s_waitcnt lgkmcnt(0)
	s_barrier
	v_add_f64 v[16:17], v[86:87], v[90:91]
	ds_write_b64 v153, v[10:11] offset:48
	v_mul_u32_u24_e32 v10, 0x48, v112
	v_lshlrev_b32_sdwa v11, v169, v113 dst_sel:DWORD dst_unused:UNUSED_PAD src0_sel:DWORD src1_sel:BYTE_0
	ds_write2_b64 v153, v[8:9], v[20:21] offset1:3
	v_add_f64 v[8:9], v[36:37], v[86:87]
	v_fmac_f64_e32 v[36:37], -0.5, v[16:17]
	v_add3_u32 v197, 0, v10, v11
	v_add_f64 v[10:11], v[88:89], -v[100:101]
	v_add_f64 v[8:9], v[8:9], v[90:91]
	v_fma_f64 v[16:17], s[2:3], v[10:11], v[36:37]
	v_fmac_f64_e32 v[36:37], s[4:5], v[10:11]
	v_add_f64 v[10:11], v[106:107], v[130:131]
	ds_write2_b64 v197, v[8:9], v[16:17] offset1:3
	v_add_f64 v[8:9], v[166:167], v[106:107]
	v_fmac_f64_e32 v[166:167], -0.5, v[10:11]
	v_perm_b32 v10, v171, v145, s12
	v_pk_mul_lo_u16 v20, v10, s13 op_sel_hi:[1,0]
	v_lshlrev_b32_e32 v10, 3, v144
	v_and_b32_e32 v11, 0xfff8, v20
	v_add3_u32 v171, 0, v11, v10
	v_add_f64 v[10:11], v[116:117], -v[136:137]
	v_add_f64 v[8:9], v[8:9], v[130:131]
	v_fma_f64 v[16:17], s[2:3], v[10:11], v[166:167]
	v_fmac_f64_e32 v[166:167], s[4:5], v[10:11]
	v_add_f64 v[10:11], v[104:105], v[122:123]
	ds_write_b64 v197, v[36:37] offset:48
	ds_write2_b64 v171, v[8:9], v[16:17] offset1:3
	v_add_f64 v[8:9], v[164:165], v[104:105]
	v_fmac_f64_e32 v[164:165], -0.5, v[10:11]
	v_lshrrev_b32_e32 v10, 16, v20
	v_lshlrev_b32_e32 v11, 3, v216
	ds_write_b64 v171, v[166:167] offset:48
	v_add3_u32 v166, 0, v10, v11
	v_add_f64 v[10:11], v[84:85], -v[126:127]
	v_add_f64 v[8:9], v[8:9], v[122:123]
	v_fma_f64 v[16:17], s[2:3], v[10:11], v[164:165]
	v_fmac_f64_e32 v[164:165], s[4:5], v[10:11]
	v_add_f64 v[10:11], v[94:95], v[132:133]
	ds_write2_b64 v166, v[8:9], v[16:17] offset1:3
	v_add_f64 v[8:9], v[162:163], v[94:95]
	v_fmac_f64_e32 v[162:163], -0.5, v[10:11]
	v_perm_b32 v10, v219, v217, s12
	v_pk_mul_lo_u16 v20, v10, s13 op_sel_hi:[1,0]
	v_lshlrev_b32_e32 v10, 3, v218
	v_and_b32_e32 v11, 0xfff8, v20
	ds_write_b64 v166, v[164:165] offset:48
	v_add3_u32 v164, 0, v11, v10
	v_add_f64 v[10:11], v[118:119], -v[138:139]
	v_add_f64 v[8:9], v[8:9], v[132:133]
	v_fma_f64 v[16:17], s[2:3], v[10:11], v[162:163]
	v_fmac_f64_e32 v[162:163], s[4:5], v[10:11]
	v_add_f64 v[10:11], v[68:69], v[124:125]
	ds_write2_b64 v164, v[8:9], v[16:17] offset1:3
	v_add_f64 v[8:9], v[160:161], v[68:69]
	v_fmac_f64_e32 v[160:161], -0.5, v[10:11]
	v_lshrrev_b32_e32 v10, 16, v20
	v_lshlrev_b32_e32 v11, 3, v220
	v_add3_u32 v165, 0, v10, v11
	v_add_f64 v[10:11], v[92:93], -v[128:129]
	v_add_f64 v[8:9], v[8:9], v[124:125]
	v_fma_f64 v[16:17], s[2:3], v[10:11], v[160:161]
	v_fmac_f64_e32 v[160:161], s[4:5], v[10:11]
	v_add_f64 v[10:11], v[96:97], v[134:135]
	ds_write_b64 v164, v[162:163] offset:48
	ds_write2_b64 v165, v[8:9], v[16:17] offset1:3
	v_add_f64 v[8:9], v[158:159], v[96:97]
	v_fmac_f64_e32 v[158:159], -0.5, v[10:11]
	v_perm_b32 v10, v223, v221, s12
	v_pk_mul_lo_u16 v20, v10, s13 op_sel_hi:[1,0]
	v_lshlrev_b32_e32 v10, 3, v222
	v_and_b32_e32 v11, 0xfff8, v20
	v_add3_u32 v167, 0, v11, v10
	v_add_f64 v[10:11], v[120:121], -v[140:141]
	v_add_f64 v[8:9], v[8:9], v[134:135]
	v_fma_f64 v[16:17], s[2:3], v[10:11], v[158:159]
	v_fmac_f64_e32 v[158:159], s[4:5], v[10:11]
	v_add_f64 v[10:11], v[60:61], v[64:65]
	ds_write_b64 v165, v[160:161] offset:48
	ds_write2_b64 v167, v[8:9], v[16:17] offset1:3
	v_add_f64 v[8:9], v[102:103], v[60:61]
	v_fmac_f64_e32 v[102:103], -0.5, v[10:11]
	v_lshrrev_b32_e32 v10, 16, v20
	v_lshlrev_b32_e32 v11, 3, v224
	v_add3_u32 v208, 0, v10, v11
	v_add_f64 v[10:11], v[62:63], -v[66:67]
	v_add_f64 v[8:9], v[8:9], v[64:65]
	v_fma_f64 v[16:17], s[2:3], v[10:11], v[102:103]
	ds_write_b64 v167, v[158:159] offset:48
	ds_write2_b64 v208, v[8:9], v[16:17] offset1:3
	v_fmac_f64_e32 v[102:103], s[4:5], v[10:11]
	v_mul_u32_u24_e32 v8, 0x48, v108
	v_lshlrev_b32_e32 v9, 3, v109
	v_add_f64 v[10:11], v[18:19], v[76:77]
	v_add3_u32 v209, 0, v8, v9
	v_add_f64 v[8:9], v[4:5], v[18:19]
	v_fma_f64 v[4:5], -0.5, v[10:11], v[4:5]
	v_add_f64 v[10:11], v[78:79], -v[80:81]
	v_add_f64 v[8:9], v[8:9], v[76:77]
	v_fma_f64 v[16:17], s[2:3], v[10:11], v[4:5]
	v_fmac_f64_e32 v[4:5], s[4:5], v[10:11]
	ds_write_b64 v208, v[102:103] offset:48
	ds_write2_b64 v209, v[8:9], v[16:17] offset1:3
	v_add_f64 v[8:9], v[6:7], v[12:13]
	v_add_f64 v[10:11], v[12:13], v[70:71]
	ds_write_b64 v209, v[4:5] offset:48
	v_mul_u32_u24_e32 v4, 0x48, v110
	v_lshlrev_b32_e32 v5, 3, v111
	v_fmac_f64_e32 v[6:7], -0.5, v[10:11]
	v_add3_u32 v210, 0, v4, v5
	v_add_f64 v[4:5], v[8:9], v[70:71]
	v_add_f64 v[8:9], v[74:75], -v[72:73]
	v_fma_f64 v[10:11], s[2:3], v[8:9], v[6:7]
	ds_write2_b64 v210, v[4:5], v[10:11] offset1:3
	v_add_f64 v[4:5], v[198:199], v[2:3]
	v_add_f64 v[2:3], v[2:3], v[14:15]
	v_add_f64 v[158:159], v[32:33], -v[0:1]
	v_fma_f64 v[160:161], -0.5, v[2:3], v[198:199]
	v_fmac_f64_e32 v[6:7], s[4:5], v[8:9]
	v_add_f64 v[102:103], v[4:5], v[14:15]
	v_fma_f64 v[162:163], s[4:5], v[158:159], v[160:161]
	ds_write_b64 v210, v[6:7] offset:48
	s_waitcnt lgkmcnt(0)
	s_barrier
	v_add_u32_e32 v152, 0x1c00, v174
	v_add_u32_e32 v146, 0x2400, v174
	;; [unrolled: 1-line block ×9, first 2 shown]
	ds_read_b64 v[110:111], v196
	ds_read_b64 v[114:115], v181
	;; [unrolled: 1-line block ×3, first 2 shown]
	ds_read_b64 v[112:113], v174 offset:25056
	ds_read2_b64 v[0:3], v174 offset1:108
	ds_read2_b64 v[52:55], v152 offset0:76 offset1:184
	ds_read2_b64 v[36:39], v146 offset0:36 offset1:144
	;; [unrolled: 1-line block ×12, first 2 shown]
	s_waitcnt lgkmcnt(0)
	s_barrier
	ds_write2_b64 v153, v[102:103], v[162:163] offset1:3
	v_add_f64 v[102:103], v[200:201], v[88:89]
	v_add_f64 v[88:89], v[88:89], v[100:101]
	v_fmac_f64_e32 v[200:201], -0.5, v[88:89]
	v_add_f64 v[86:87], v[86:87], -v[90:91]
	v_fmac_f64_e32 v[160:161], s[2:3], v[158:159]
	v_add_f64 v[102:103], v[102:103], v[100:101]
	v_fma_f64 v[88:89], s[4:5], v[86:87], v[200:201]
	ds_write_b64 v153, v[160:161] offset:48
	ds_write2_b64 v197, v[102:103], v[88:89] offset1:3
	v_add_f64 v[88:89], v[116:117], v[136:137]
	v_fmac_f64_e32 v[200:201], s[2:3], v[86:87]
	v_add_f64 v[86:87], v[202:203], v[116:117]
	v_fmac_f64_e32 v[202:203], -0.5, v[88:89]
	v_add_f64 v[88:89], v[106:107], -v[130:131]
	v_add_f64 v[86:87], v[86:87], v[136:137]
	v_fma_f64 v[90:91], s[4:5], v[88:89], v[202:203]
	ds_write_b64 v197, v[200:201] offset:48
	ds_write2_b64 v171, v[86:87], v[90:91] offset1:3
	v_add_f64 v[86:87], v[204:205], v[84:85]
	v_add_f64 v[84:85], v[84:85], v[126:127]
	v_fmac_f64_e32 v[204:205], -0.5, v[84:85]
	v_add_f64 v[84:85], v[104:105], -v[122:123]
	v_fmac_f64_e32 v[202:203], s[2:3], v[88:89]
	v_add_f64 v[86:87], v[86:87], v[126:127]
	v_fma_f64 v[88:89], s[4:5], v[84:85], v[204:205]
	ds_write_b64 v171, v[202:203] offset:48
	ds_write2_b64 v166, v[86:87], v[88:89] offset1:3
	v_add_f64 v[86:87], v[118:119], v[138:139]
	v_fmac_f64_e32 v[204:205], s[2:3], v[84:85]
	v_add_f64 v[84:85], v[206:207], v[118:119]
	v_fmac_f64_e32 v[206:207], -0.5, v[86:87]
	v_add_f64 v[86:87], v[94:95], -v[132:133]
	v_add_f64 v[84:85], v[84:85], v[138:139]
	v_fma_f64 v[88:89], s[4:5], v[86:87], v[206:207]
	v_fmac_f64_e32 v[206:207], s[2:3], v[86:87]
	v_add_f64 v[86:87], v[92:93], v[128:129]
	ds_write_b64 v166, v[204:205] offset:48
	ds_write2_b64 v164, v[84:85], v[88:89] offset1:3
	v_add_f64 v[84:85], v[142:143], v[92:93]
	v_fmac_f64_e32 v[142:143], -0.5, v[86:87]
	v_add_f64 v[68:69], v[68:69], -v[124:125]
	v_add_f64 v[84:85], v[84:85], v[128:129]
	v_fma_f64 v[86:87], s[4:5], v[68:69], v[142:143]
	ds_write_b64 v164, v[206:207] offset:48
	ds_write2_b64 v165, v[84:85], v[86:87] offset1:3
	v_add_f64 v[84:85], v[120:121], v[140:141]
	v_fmac_f64_e32 v[142:143], s[2:3], v[68:69]
	v_add_f64 v[68:69], v[98:99], v[120:121]
	v_fmac_f64_e32 v[98:99], -0.5, v[84:85]
	v_add_f64 v[84:85], v[96:97], -v[134:135]
	v_add_f64 v[68:69], v[68:69], v[140:141]
	v_fma_f64 v[86:87], s[4:5], v[84:85], v[98:99]
	ds_write_b64 v165, v[142:143] offset:48
	ds_write2_b64 v167, v[68:69], v[86:87] offset1:3
	v_add_f64 v[68:69], v[56:57], v[78:79]
	v_add_f64 v[78:79], v[78:79], v[80:81]
	v_add_f64 v[18:19], v[18:19], -v[76:77]
	v_fma_f64 v[56:57], -0.5, v[78:79], v[56:57]
	v_fma_f64 v[76:77], s[4:5], v[18:19], v[56:57]
	v_fmac_f64_e32 v[56:57], s[2:3], v[18:19]
	v_add_f64 v[18:19], v[58:59], v[74:75]
	v_add_f64 v[18:19], v[18:19], v[72:73]
	;; [unrolled: 1-line block ×3, first 2 shown]
	v_fmac_f64_e32 v[58:59], -0.5, v[72:73]
	v_add_f64 v[12:13], v[12:13], -v[70:71]
	v_fma_f64 v[70:71], s[4:5], v[12:13], v[58:59]
	v_fmac_f64_e32 v[58:59], s[2:3], v[12:13]
	v_add_f64 v[12:13], v[82:83], v[62:63]
	v_add_f64 v[62:63], v[62:63], v[66:67]
	v_fmac_f64_e32 v[98:99], s[2:3], v[84:85]
	v_add_f64 v[12:13], v[12:13], v[66:67]
	v_fmac_f64_e32 v[82:83], -0.5, v[62:63]
	v_add_f64 v[60:61], v[60:61], -v[64:65]
	v_add_f64 v[68:69], v[68:69], v[80:81]
	v_fma_f64 v[62:63], s[4:5], v[60:61], v[82:83]
	v_fmac_f64_e32 v[82:83], s[2:3], v[60:61]
	ds_write_b64 v167, v[98:99] offset:48
	ds_write2_b64 v208, v[12:13], v[62:63] offset1:3
	ds_write_b64 v208, v[82:83] offset:48
	ds_write2_b64 v209, v[68:69], v[76:77] offset1:3
	;; [unrolled: 2-line block ×3, first 2 shown]
	ds_write_b64 v210, v[58:59] offset:48
	v_mov_b32_e32 v12, 57
	v_mul_lo_u16_sdwa v13, v172, v12 dst_sel:DWORD dst_unused:UNUSED_PAD src0_sel:BYTE_0 src1_sel:DWORD
	v_lshrrev_b16_e32 v160, 9, v13
	v_mul_lo_u16_e32 v13, 9, v160
	v_sub_u16_e32 v161, v172, v13
	v_mov_b32_e32 v13, 9
	v_mul_u32_u24_sdwa v18, v161, v13 dst_sel:DWORD dst_unused:UNUSED_PAD src0_sel:BYTE_0 src1_sel:DWORD
	v_lshlrev_b32_e32 v18, 4, v18
	s_waitcnt lgkmcnt(0)
	s_barrier
	global_load_dwordx4 v[56:59], v18, s[8:9] offset:128
	v_mul_lo_u16_sdwa v12, v168, v12 dst_sel:DWORD dst_unused:UNUSED_PAD src0_sel:BYTE_0 src1_sel:DWORD
	v_lshrrev_b16_e32 v164, 9, v12
	v_mul_lo_u16_e32 v12, 9, v164
	v_sub_u16_e32 v165, v168, v12
	v_mul_u32_u24_sdwa v12, v165, v13 dst_sel:DWORD dst_unused:UNUSED_PAD src0_sel:BYTE_0 src1_sel:DWORD
	v_lshlrev_b32_e32 v19, 4, v12
	global_load_dwordx4 v[72:75], v19, s[8:9] offset:128
	global_load_dwordx4 v[64:67], v18, s[8:9] offset:160
	;; [unrolled: 1-line block ×8, first 2 shown]
	s_mov_b32 s12, 0xe38f
	v_mul_u32_u24_sdwa v12, v179, s12 dst_sel:DWORD dst_unused:UNUSED_PAD src0_sel:WORD_0 src1_sel:DWORD
	v_lshrrev_b32_e32 v166, 19, v12
	v_mul_lo_u16_e32 v12, 9, v166
	v_sub_u16_e32 v167, v179, v12
	v_mul_u32_u24_e32 v12, 9, v167
	v_lshlrev_b32_e32 v142, 4, v12
	global_load_dwordx4 v[92:95], v142, s[8:9] offset:96
	global_load_dwordx4 v[88:91], v19, s[8:9] offset:112
	;; [unrolled: 1-line block ×6, first 2 shown]
	ds_read2_b64 v[130:133], v152 offset0:76 offset1:184
	global_load_dwordx4 v[202:205], v142, s[8:9] offset:144
	global_load_dwordx4 v[206:209], v18, s[8:9] offset:176
	;; [unrolled: 1-line block ×7, first 2 shown]
	s_mov_b32 s12, 0x372fe950
	s_mov_b32 s13, 0x3fd3c6ef
	s_waitcnt vmcnt(21) lgkmcnt(0)
	v_mul_f64 v[12:13], v[130:131], v[58:59]
	v_mul_f64 v[122:123], v[52:53], v[58:59]
	v_fma_f64 v[128:129], v[52:53], v[56:57], -v[12:13]
	v_fmac_f64_e32 v[122:123], v[130:131], v[56:57]
	ds_read2_b64 v[56:59], v151 offset0:84 offset1:192
	s_waitcnt vmcnt(20)
	v_mul_f64 v[12:13], v[132:133], v[74:75]
	v_fma_f64 v[118:119], v[54:55], v[72:73], -v[12:13]
	v_mul_f64 v[120:121], v[54:55], v[74:75]
	global_load_dwordx4 v[52:55], v19, s[8:9] offset:176
	s_waitcnt vmcnt(20) lgkmcnt(0)
	v_mul_f64 v[12:13], v[56:57], v[66:67]
	v_fma_f64 v[130:131], v[48:49], v[64:65], -v[12:13]
	v_mul_f64 v[48:49], v[48:49], v[66:67]
	v_fmac_f64_e32 v[48:49], v[56:57], v[64:65]
	ds_read2_b64 v[64:67], v150 offset0:92 offset1:200
	global_load_dwordx4 v[150:153], v18, s[8:9] offset:208
	v_fmac_f64_e32 v[120:121], v[132:133], v[72:73]
	ds_read2_b64 v[72:75], v149 offset0:100 offset1:208
	s_waitcnt vmcnt(20)
	v_mul_f64 v[12:13], v[58:59], v[86:87]
	v_fma_f64 v[132:133], v[50:51], v[84:85], -v[12:13]
	s_waitcnt vmcnt(19) lgkmcnt(1)
	v_mul_f64 v[12:13], v[64:65], v[98:99]
	v_fma_f64 v[138:139], v[24:25], v[96:97], -v[12:13]
	s_waitcnt vmcnt(18)
	v_mul_f64 v[12:13], v[66:67], v[82:83]
	v_fma_f64 v[134:135], v[26:27], v[80:81], -v[12:13]
	s_waitcnt vmcnt(17) lgkmcnt(0)
	v_mul_f64 v[12:13], v[72:73], v[78:79]
	v_mul_f64 v[116:117], v[14:15], v[78:79]
	v_fma_f64 v[140:141], v[14:15], v[76:77], -v[12:13]
	v_fmac_f64_e32 v[116:117], v[72:73], v[76:77]
	ds_read2_b64 v[76:79], v148 offset0:48 offset1:156
	v_mul_f64 v[56:57], v[50:51], v[86:87]
	v_mul_f64 v[50:51], v[24:25], v[98:99]
	s_waitcnt vmcnt(16)
	v_mul_f64 v[12:13], v[74:75], v[70:71]
	v_fmac_f64_e32 v[50:51], v[64:65], v[96:97]
	v_mul_f64 v[64:65], v[26:27], v[82:83]
	v_fma_f64 v[136:137], v[16:17], v[68:69], -v[12:13]
	global_load_dwordx4 v[12:15], v18, s[8:9] offset:96
	v_fmac_f64_e32 v[64:65], v[66:67], v[80:81]
	v_mul_f64 v[66:67], v[16:17], v[70:71]
	s_waitcnt vmcnt(16) lgkmcnt(0)
	v_mul_f64 v[24:25], v[76:77], v[62:63]
	global_load_dwordx4 v[16:19], v18, s[8:9] offset:112
	v_fma_f64 v[80:81], v[44:45], v[60:61], -v[24:25]
	global_load_dwordx4 v[24:27], v142, s[8:9] offset:224
	v_fmac_f64_e32 v[66:67], v[74:75], v[68:69]
	ds_read2_b64 v[68:71], v147 offset0:116 offset1:224
	v_mul_f64 v[82:83], v[44:45], v[62:63]
	s_waitcnt vmcnt(17)
	v_mul_f64 v[44:45], v[78:79], v[94:95]
	v_fmac_f64_e32 v[56:57], v[58:59], v[84:85]
	v_fmac_f64_e32 v[82:83], v[76:77], v[60:61]
	v_fma_f64 v[58:59], v[46:47], v[92:93], -v[44:45]
	v_mul_f64 v[60:61], v[46:47], v[94:95]
	s_waitcnt vmcnt(16) lgkmcnt(0)
	v_mul_f64 v[44:45], v[68:69], v[90:91]
	v_fmac_f64_e32 v[60:61], v[78:79], v[92:93]
	v_fma_f64 v[92:93], v[40:41], v[88:89], -v[44:45]
	ds_read2_b64 v[44:47], v146 offset0:36 offset1:144
	ds_read2_b64 v[74:77], v183 offset0:124 offset1:232
	v_mul_f64 v[84:85], v[40:41], v[90:91]
	s_waitcnt vmcnt(15)
	v_mul_f64 v[40:41], v[70:71], v[102:103]
	v_fmac_f64_e32 v[84:85], v[68:69], v[88:89]
	v_fma_f64 v[68:69], v[42:43], v[100:101], -v[40:41]
	s_waitcnt vmcnt(14) lgkmcnt(1)
	v_mul_f64 v[40:41], v[46:47], v[106:107]
	v_fma_f64 v[40:41], v[38:39], v[104:105], -v[40:41]
	v_mul_f64 v[106:107], v[38:39], v[106:107]
	s_waitcnt vmcnt(13)
	v_mul_f64 v[38:39], v[44:45], v[126:127]
	v_mul_f64 v[62:63], v[42:43], v[102:103]
	v_fma_f64 v[38:39], v[36:37], v[124:125], -v[38:39]
	v_mul_f64 v[36:37], v[36:37], v[126:127]
	s_waitcnt vmcnt(12) lgkmcnt(0)
	v_mul_f64 v[42:43], v[74:75], v[200:201]
	v_fmac_f64_e32 v[36:37], v[44:45], v[124:125]
	v_fma_f64 v[98:99], v[32:33], v[198:199], -v[42:43]
	ds_read2_b64 v[42:45], v145 offset0:44 offset1:152
	v_mul_f64 v[90:91], v[32:33], v[200:201]
	s_waitcnt vmcnt(11)
	v_mul_f64 v[32:33], v[76:77], v[204:205]
	s_waitcnt vmcnt(10)
	v_mul_f64 v[124:125], v[30:31], v[208:209]
	v_fmac_f64_e32 v[106:107], v[46:47], v[104:105]
	v_fmac_f64_e32 v[90:91], v[74:75], v[198:199]
	v_fma_f64 v[74:75], v[34:35], v[202:203], -v[32:33]
	s_waitcnt lgkmcnt(0)
	v_mul_f64 v[32:33], v[44:45], v[208:209]
	v_fmac_f64_e32 v[124:125], v[44:45], v[206:207]
	ds_read2_b64 v[44:47], v175 offset0:4 offset1:112
	v_fmac_f64_e32 v[62:63], v[70:71], v[100:101]
	v_fma_f64 v[32:33], v[30:31], v[206:207], -v[32:33]
	s_waitcnt vmcnt(9)
	v_mul_f64 v[30:31], v[42:43], v[212:213]
	v_mul_f64 v[70:71], v[28:29], v[212:213]
	v_fma_f64 v[30:31], v[28:29], v[210:211], -v[30:31]
	v_fmac_f64_e32 v[70:71], v[42:43], v[210:211]
	v_mul_f64 v[72:73], v[34:35], v[204:205]
	v_fmac_f64_e32 v[72:73], v[76:77], v[202:203]
	s_waitcnt vmcnt(7)
	v_mul_f64 v[76:77], v[22:23], v[216:217]
	s_waitcnt lgkmcnt(0)
	v_fmac_f64_e32 v[76:77], v[46:47], v[214:215]
	s_waitcnt vmcnt(4)
	v_mul_f64 v[96:97], v[20:21], v[54:55]
	v_mul_f64 v[28:29], v[44:45], v[54:55]
	v_fmac_f64_e32 v[96:97], v[44:45], v[52:53]
	ds_read2_b64 v[42:45], v144 offset0:52 offset1:160
	v_fma_f64 v[102:103], v[20:21], v[52:53], -v[28:29]
	v_mul_f64 v[20:21], v[46:47], v[216:217]
	s_waitcnt vmcnt(3)
	v_mul_f64 v[126:127], v[10:11], v[152:153]
	v_fma_f64 v[88:89], v[22:23], v[214:215], -v[20:21]
	s_waitcnt lgkmcnt(0)
	v_mul_f64 v[20:21], v[44:45], v[152:153]
	v_fmac_f64_e32 v[126:127], v[44:45], v[150:151]
	ds_read2_b64 v[44:47], v189 offset0:140 offset1:248
	v_fma_f64 v[20:21], v[10:11], v[150:151], -v[20:21]
	v_mul_f64 v[10:11], v[42:43], v[220:221]
	v_fma_f64 v[10:11], v[8:9], v[218:219], -v[10:11]
	v_mul_f64 v[78:79], v[8:9], v[220:221]
	s_waitcnt lgkmcnt(0)
	v_mul_f64 v[8:9], v[44:45], v[224:225]
	v_fma_f64 v[104:105], v[4:5], v[222:223], -v[8:9]
	ds_read_b64 v[8:9], v181
	v_mul_f64 v[100:101], v[4:5], v[224:225]
	v_mul_f64 v[4:5], v[46:47], v[228:229]
	v_fma_f64 v[94:95], v[6:7], v[226:227], -v[4:5]
	v_mul_f64 v[86:87], v[6:7], v[228:229]
	ds_read_b64 v[6:7], v196
	ds_read_b64 v[4:5], v174 offset:25056
	ds_read_b64 v[142:143], v180
	v_fmac_f64_e32 v[100:101], v[44:45], v[222:223]
	v_add_f64 v[44:45], v[56:57], -v[64:65]
	v_fmac_f64_e32 v[86:87], v[46:47], v[226:227]
	s_waitcnt vmcnt(2)
	v_mul_f64 v[150:151], v[114:115], v[14:15]
	s_waitcnt lgkmcnt(3)
	v_mul_f64 v[22:23], v[8:9], v[14:15]
	v_fmac_f64_e32 v[150:151], v[8:9], v[12:13]
	v_add_f64 v[14:15], v[92:93], v[104:105]
	s_waitcnt vmcnt(1) lgkmcnt(2)
	v_mul_f64 v[8:9], v[6:7], v[18:19]
	v_fma_f64 v[8:9], v[110:111], v[16:17], -v[8:9]
	v_mul_f64 v[158:159], v[110:111], v[18:19]
	s_waitcnt vmcnt(0)
	v_mul_f64 v[110:111], v[112:113], v[26:27]
	v_fmac_f64_e32 v[158:159], v[6:7], v[16:17]
	s_waitcnt lgkmcnt(1)
	v_mul_f64 v[6:7], v[4:5], v[26:27]
	v_fmac_f64_e32 v[110:111], v[4:5], v[24:25]
	v_add_f64 v[4:5], v[98:99], v[102:103]
	v_fma_f64 v[148:149], v[114:115], v[12:13], -v[22:23]
	v_fma_f64 v[4:5], -0.5, v[4:5], v[2:3]
	v_add_f64 v[12:13], v[2:3], v[92:93]
	v_fmac_f64_e32 v[2:3], -0.5, v[14:15]
	v_add_f64 v[14:15], v[98:99], -v[92:93]
	v_add_f64 v[16:17], v[102:103], -v[104:105]
	v_add_f64 v[14:15], v[14:15], v[16:17]
	v_add_f64 v[16:17], v[132:133], v[134:135]
	;; [unrolled: 1-line block ×3, first 2 shown]
	v_fma_f64 v[6:7], v[112:113], v[24:25], -v[6:7]
	v_fma_f64 v[112:113], -0.5, v[16:17], v[80:81]
	v_add_f64 v[16:17], v[80:81], v[118:119]
	v_fmac_f64_e32 v[80:81], -0.5, v[18:19]
	v_add_f64 v[18:19], v[132:133], -v[118:119]
	v_add_f64 v[22:23], v[134:135], -v[136:137]
	v_add_f64 v[18:19], v[18:19], v[22:23]
	v_add_f64 v[22:23], v[56:57], v[64:65]
	v_fma_f64 v[114:115], -0.5, v[22:23], v[82:83]
	v_add_f64 v[22:23], v[120:121], v[66:67]
	v_add_f64 v[144:145], v[82:83], v[120:121]
	v_fmac_f64_e32 v[82:83], -0.5, v[22:23]
	v_fma_f64 v[146:147], s[14:15], v[44:45], v[80:81]
	v_fmac_f64_e32 v[80:81], s[20:21], v[44:45]
	v_add_f64 v[46:47], v[120:121], -v[66:67]
	v_add_f64 v[196:197], v[132:133], -v[134:135]
	;; [unrolled: 1-line block ×5, first 2 shown]
	v_fmac_f64_e32 v[80:81], s[16:17], v[46:47]
	v_fma_f64 v[152:153], s[20:21], v[196:197], v[82:83]
	v_fmac_f64_e32 v[82:83], s[14:15], v[196:197]
	v_add_f64 v[198:199], v[118:119], -v[136:137]
	v_fmac_f64_e32 v[78:79], v[42:43], v[218:219]
	v_add_f64 v[22:23], v[22:23], v[24:25]
	v_fma_f64 v[34:35], s[14:15], v[28:29], v[2:3]
	v_fmac_f64_e32 v[2:3], s[20:21], v[28:29]
	v_add_f64 v[42:43], v[84:85], -v[100:101]
	v_fmac_f64_e32 v[80:81], s[12:13], v[18:19]
	v_fmac_f64_e32 v[82:83], s[18:19], v[198:199]
	;; [unrolled: 1-line block ×4, first 2 shown]
	v_mul_f64 v[52:53], v[80:81], s[12:13]
	v_fmac_f64_e32 v[2:3], s[12:13], v[14:15]
	v_fma_f64 v[52:53], v[82:83], s[20:21], -v[52:53]
	v_add_f64 v[200:201], v[2:3], v[52:53]
	v_add_f64 v[2:3], v[2:3], -v[52:53]
	v_add_f64 v[52:53], v[8:9], -v[40:41]
	;; [unrolled: 1-line block ×3, first 2 shown]
	v_add_f64 v[202:203], v[52:53], v[54:55]
	v_add_f64 v[52:53], v[128:129], -v[130:131]
	v_add_f64 v[54:55], v[140:141], -v[138:139]
	v_add_f64 v[204:205], v[52:53], v[54:55]
	v_add_f64 v[52:53], v[122:123], -v[48:49]
	v_add_f64 v[54:55], v[116:117], -v[50:51]
	v_add_f64 v[206:207], v[52:53], v[54:55]
	v_mul_u32_u24_e32 v52, 0x2d0, v160
	v_lshlrev_b32_sdwa v53, v169, v161 dst_sel:DWORD dst_unused:UNUSED_PAD src0_sel:DWORD src1_sel:BYTE_0
	v_add3_u32 v171, 0, v52, v53
	v_add_f64 v[52:53], v[148:149], v[128:129]
	v_add_f64 v[52:53], v[52:53], v[130:131]
	;; [unrolled: 1-line block ×5, first 2 shown]
	v_fma_f64 v[160:161], -0.5, v[52:53], v[148:149]
	v_add_f64 v[52:53], v[48:49], v[50:51]
	v_fma_f64 v[162:163], -0.5, v[52:53], v[150:151]
	v_add_f64 v[222:223], v[128:129], -v[140:141]
	v_add_f64 v[24:25], v[40:41], v[32:33]
	v_add_f64 v[26:27], v[8:9], v[20:21]
	v_add_f64 v[216:217], v[122:123], -v[116:117]
	v_fma_f64 v[224:225], s[14:15], v[222:223], v[162:163]
	v_add_f64 v[226:227], v[130:131], -v[138:139]
	v_fma_f64 v[24:25], -0.5, v[24:25], v[0:1]
	v_fma_f64 v[26:27], -0.5, v[26:27], v[0:1]
	v_add_f64 v[0:1], v[0:1], v[8:9]
	v_add_f64 v[208:209], v[158:159], -v[126:127]
	v_fma_f64 v[218:219], s[20:21], v[216:217], v[160:161]
	v_add_f64 v[220:221], v[48:49], -v[50:51]
	v_fmac_f64_e32 v[224:225], s[16:17], v[226:227]
	v_add_f64 v[0:1], v[0:1], v[40:41]
	v_fma_f64 v[210:211], s[20:21], v[208:209], v[24:25]
	v_add_f64 v[212:213], v[106:107], -v[124:125]
	v_fmac_f64_e32 v[218:219], s[18:19], v[220:221]
	v_fmac_f64_e32 v[224:225], s[12:13], v[206:207]
	v_add_f64 v[0:1], v[0:1], v[32:33]
	v_fmac_f64_e32 v[210:211], s[18:19], v[212:213]
	v_fmac_f64_e32 v[218:219], s[12:13], v[204:205]
	v_mul_f64 v[228:229], v[224:225], s[18:19]
	v_add_f64 v[0:1], v[0:1], v[20:21]
	v_fmac_f64_e32 v[210:211], s[12:13], v[202:203]
	v_fmac_f64_e32 v[228:229], s[22:23], v[218:219]
	v_add_f64 v[230:231], v[0:1], v[214:215]
	v_add_f64 v[232:233], v[210:211], v[228:229]
	ds_read2_b64 v[52:55], v174 offset1:108
	s_waitcnt lgkmcnt(0)
	s_barrier
	ds_write2_b64 v171, v[230:231], v[232:233] offset1:9
	v_add_f64 v[230:231], v[40:41], -v[8:9]
	v_add_f64 v[232:233], v[32:33], -v[20:21]
	v_add_f64 v[230:231], v[230:231], v[232:233]
	v_fma_f64 v[232:233], s[14:15], v[212:213], v[26:27]
	v_fmac_f64_e32 v[26:27], s[20:21], v[212:213]
	v_fmac_f64_e32 v[232:233], s[18:19], v[208:209]
	;; [unrolled: 1-line block ×5, first 2 shown]
	v_add_f64 v[230:231], v[128:129], v[140:141]
	v_fmac_f64_e32 v[148:149], -0.5, v[230:231]
	v_add_f64 v[128:129], v[130:131], -v[128:129]
	v_add_f64 v[130:131], v[138:139], -v[140:141]
	v_add_f64 v[130:131], v[128:129], v[130:131]
	v_fma_f64 v[128:129], s[14:15], v[220:221], v[148:149]
	v_fmac_f64_e32 v[148:149], s[20:21], v[220:221]
	v_fmac_f64_e32 v[128:129], s[18:19], v[216:217]
	;; [unrolled: 1-line block ×5, first 2 shown]
	v_add_f64 v[130:131], v[122:123], v[116:117]
	v_add_f64 v[138:139], v[150:151], v[122:123]
	v_fmac_f64_e32 v[150:151], -0.5, v[130:131]
	v_add_f64 v[122:123], v[48:49], -v[122:123]
	v_add_f64 v[130:131], v[50:51], -v[116:117]
	v_fmac_f64_e32 v[160:161], s[14:15], v[216:217]
	v_add_f64 v[122:123], v[122:123], v[130:131]
	v_fma_f64 v[130:131], s[20:21], v[226:227], v[150:151]
	v_fmac_f64_e32 v[24:25], s[14:15], v[208:209]
	v_fmac_f64_e32 v[160:161], s[16:17], v[220:221]
	v_fmac_f64_e32 v[162:163], s[20:21], v[222:223]
	v_fmac_f64_e32 v[130:131], s[16:17], v[222:223]
	v_fmac_f64_e32 v[150:151], s[14:15], v[226:227]
	v_fmac_f64_e32 v[24:25], s[16:17], v[212:213]
	v_fmac_f64_e32 v[160:161], s[12:13], v[204:205]
	v_fmac_f64_e32 v[162:163], s[18:19], v[226:227]
	v_fmac_f64_e32 v[130:131], s[12:13], v[122:123]
	v_fmac_f64_e32 v[150:151], s[18:19], v[222:223]
	v_fmac_f64_e32 v[24:25], s[12:13], v[202:203]
	v_fmac_f64_e32 v[162:163], s[12:13], v[206:207]
	v_mul_f64 v[202:203], v[160:161], s[22:23]
	v_fmac_f64_e32 v[150:151], s[12:13], v[122:123]
	v_mul_f64 v[122:123], v[130:131], s[20:21]
	v_fma_f64 v[202:203], v[162:163], s[18:19], -v[202:203]
	v_fmac_f64_e32 v[122:123], s[12:13], v[128:129]
	v_mul_f64 v[140:141], v[148:149], s[12:13]
	v_add_f64 v[0:1], v[0:1], -v[214:215]
	v_add_f64 v[204:205], v[24:25], v[202:203]
	v_fma_f64 v[140:141], v[150:151], s[20:21], -v[140:141]
	v_add_f64 v[230:231], v[232:233], v[122:123]
	ds_write2_b64 v171, v[204:205], v[0:1] offset0:36 offset1:45
	v_add_f64 v[0:1], v[210:211], -v[228:229]
	v_add_f64 v[122:123], v[232:233], -v[122:123]
	ds_write2_b64 v171, v[0:1], v[122:123] offset0:54 offset1:63
	v_add_f64 v[0:1], v[26:27], -v[140:141]
	v_add_f64 v[24:25], v[24:25], -v[202:203]
	ds_write2_b64 v171, v[0:1], v[24:25] offset0:72 offset1:81
	v_add_f64 v[0:1], v[92:93], -v[98:99]
	v_add_f64 v[24:25], v[104:105], -v[102:103]
	v_add_f64 v[234:235], v[26:27], v[140:141]
	v_add_f64 v[0:1], v[0:1], v[24:25]
	v_add_f64 v[24:25], v[118:119], -v[132:133]
	v_add_f64 v[26:27], v[136:137], -v[134:135]
	v_add_f64 v[24:25], v[24:25], v[26:27]
	v_add_f64 v[26:27], v[120:121], -v[56:57]
	v_add_f64 v[118:119], v[66:67], -v[64:65]
	v_add_f64 v[16:17], v[16:17], v[132:133]
	v_add_f64 v[26:27], v[26:27], v[118:119]
	v_mul_u32_u24_e32 v118, 0x2d0, v164
	v_lshlrev_b32_sdwa v119, v169, v165 dst_sel:DWORD dst_unused:UNUSED_PAD src0_sel:DWORD src1_sel:BYTE_0
	v_add_f64 v[12:13], v[12:13], v[98:99]
	v_fma_f64 v[132:133], s[20:21], v[46:47], v[112:113]
	v_fmac_f64_e32 v[112:113], s[14:15], v[46:47]
	v_add_f64 v[16:17], v[16:17], v[134:135]
	v_add3_u32 v165, 0, v118, v119
	v_add_f64 v[12:13], v[12:13], v[102:103]
	v_fma_f64 v[118:119], s[20:21], v[42:43], v[4:5]
	v_fma_f64 v[134:135], s[14:15], v[198:199], v[114:115]
	v_fmac_f64_e32 v[4:5], s[14:15], v[42:43]
	v_fmac_f64_e32 v[112:113], s[16:17], v[44:45]
	;; [unrolled: 1-line block ×3, first 2 shown]
	v_add_f64 v[16:17], v[16:17], v[136:137]
	v_add_f64 v[12:13], v[12:13], v[104:105]
	v_fmac_f64_e32 v[118:119], s[18:19], v[28:29]
	v_fmac_f64_e32 v[134:135], s[16:17], v[196:197]
	;; [unrolled: 1-line block ×9, first 2 shown]
	v_add_f64 v[122:123], v[12:13], v[16:17]
	v_fmac_f64_e32 v[34:35], s[18:19], v[42:43]
	v_fmac_f64_e32 v[146:147], s[18:19], v[46:47]
	;; [unrolled: 1-line block ×5, first 2 shown]
	v_add_f64 v[0:1], v[12:13], -v[16:17]
	v_mul_f64 v[12:13], v[112:113], s[22:23]
	v_fmac_f64_e32 v[132:133], s[12:13], v[24:25]
	v_mul_f64 v[120:121], v[134:135], s[18:19]
	v_fmac_f64_e32 v[34:35], s[12:13], v[14:15]
	v_fmac_f64_e32 v[146:147], s[12:13], v[18:19]
	v_mul_f64 v[14:15], v[152:153], s[20:21]
	v_fma_f64 v[12:13], v[114:115], s[18:19], -v[12:13]
	v_fmac_f64_e32 v[120:121], s[22:23], v[132:133]
	v_fmac_f64_e32 v[14:15], s[12:13], v[146:147]
	v_add_f64 v[16:17], v[4:5], v[12:13]
	ds_write2_b64 v171, v[230:231], v[234:235] offset0:18 offset1:27
	v_add_f64 v[18:19], v[34:35], v[14:15]
	ds_write2_b64 v165, v[16:17], v[0:1] offset0:36 offset1:45
	v_add_f64 v[0:1], v[118:119], -v[120:121]
	v_add_f64 v[14:15], v[34:35], -v[14:15]
	ds_write2_b64 v165, v[0:1], v[14:15] offset0:54 offset1:63
	v_add_f64 v[0:1], v[4:5], -v[12:13]
	ds_write2_b64 v165, v[2:3], v[0:1] offset0:72 offset1:81
	v_add_f64 v[0:1], v[68:69], -v[74:75]
	v_add_f64 v[2:3], v[94:95], -v[88:89]
	v_add_f64 v[0:1], v[0:1], v[2:3]
	v_add_f64 v[2:3], v[38:39], -v[30:31]
	v_add_f64 v[4:5], v[6:7], -v[10:11]
	v_add_f64 v[2:3], v[2:3], v[4:5]
	;; [unrolled: 3-line block ×3, first 2 shown]
	v_add_f64 v[136:137], v[118:119], v[120:121]
	v_add_f64 v[4:5], v[4:5], v[12:13]
	v_mul_u32_u24_e32 v12, 0x2d0, v166
	v_lshlrev_b32_e32 v13, 3, v167
	v_add_f64 v[26:27], v[30:31], v[10:11]
	v_fma_f64 v[166:167], -0.5, v[34:35], v[60:61]
	v_add_f64 v[34:35], v[38:39], -v[6:7]
	ds_write2_b64 v165, v[122:123], v[136:137] offset1:9
	v_add_f64 v[14:15], v[74:75], v[88:89]
	v_fma_f64 v[136:137], -0.5, v[26:27], v[58:59]
	v_add_f64 v[26:27], v[36:37], -v[110:111]
	v_fma_f64 v[196:197], s[14:15], v[34:35], v[166:167]
	v_add_f64 v[42:43], v[30:31], -v[10:11]
	v_add3_u32 v220, 0, v12, v13
	v_add_f64 v[12:13], v[108:109], v[68:69]
	v_fma_f64 v[14:15], -0.5, v[14:15], v[108:109]
	v_add_f64 v[16:17], v[62:63], -v[86:87]
	v_add_f64 v[24:25], v[58:59], v[38:39]
	v_fma_f64 v[140:141], s[20:21], v[26:27], v[136:137]
	v_add_f64 v[28:29], v[70:71], -v[78:79]
	v_fmac_f64_e32 v[196:197], s[16:17], v[42:43]
	ds_write2_b64 v165, v[18:19], v[200:201] offset0:18 offset1:27
	v_add_f64 v[12:13], v[12:13], v[74:75]
	v_fma_f64 v[18:19], s[20:21], v[16:17], v[14:15]
	v_add_f64 v[22:23], v[72:73], -v[76:77]
	v_add_f64 v[24:25], v[24:25], v[30:31]
	v_fmac_f64_e32 v[140:141], s[18:19], v[28:29]
	v_fmac_f64_e32 v[196:197], s[12:13], v[4:5]
	v_add_f64 v[12:13], v[12:13], v[88:89]
	v_fmac_f64_e32 v[18:19], s[18:19], v[22:23]
	v_add_f64 v[24:25], v[24:25], v[10:11]
	v_fmac_f64_e32 v[140:141], s[12:13], v[2:3]
	v_mul_f64 v[44:45], v[196:197], s[18:19]
	v_add_f64 v[12:13], v[12:13], v[94:95]
	v_fmac_f64_e32 v[18:19], s[12:13], v[0:1]
	v_add_f64 v[24:25], v[24:25], v[6:7]
	v_fmac_f64_e32 v[44:45], s[22:23], v[140:141]
	v_add_f64 v[46:47], v[12:13], v[24:25]
	v_add_f64 v[118:119], v[18:19], v[44:45]
	ds_write2_b64 v220, v[46:47], v[118:119] offset1:9
	v_add_f64 v[46:47], v[68:69], v[94:95]
	v_fmac_f64_e32 v[108:109], -0.5, v[46:47]
	v_add_f64 v[46:47], v[74:75], -v[68:69]
	v_add_f64 v[118:119], v[88:89], -v[94:95]
	v_add_f64 v[46:47], v[46:47], v[118:119]
	v_fma_f64 v[118:119], s[14:15], v[22:23], v[108:109]
	v_fmac_f64_e32 v[108:109], s[20:21], v[22:23]
	v_fmac_f64_e32 v[118:119], s[18:19], v[16:17]
	;; [unrolled: 1-line block ×5, first 2 shown]
	v_add_f64 v[46:47], v[38:39], v[6:7]
	v_fmac_f64_e32 v[58:59], -0.5, v[46:47]
	v_add_f64 v[30:31], v[30:31], -v[38:39]
	v_add_f64 v[6:7], v[10:11], -v[6:7]
	v_fma_f64 v[198:199], s[14:15], v[28:29], v[58:59]
	v_fmac_f64_e32 v[58:59], s[20:21], v[28:29]
	v_add_f64 v[6:7], v[30:31], v[6:7]
	v_fmac_f64_e32 v[198:199], s[18:19], v[26:27]
	v_fmac_f64_e32 v[58:59], s[16:17], v[26:27]
	;; [unrolled: 1-line block ×4, first 2 shown]
	v_add_f64 v[6:7], v[36:37], v[110:111]
	v_add_f64 v[200:201], v[60:61], v[36:37]
	v_fmac_f64_e32 v[60:61], -0.5, v[6:7]
	v_fmac_f64_e32 v[136:137], s[14:15], v[26:27]
	v_add_f64 v[6:7], v[70:71], -v[36:37]
	v_add_f64 v[10:11], v[78:79], -v[110:111]
	v_fma_f64 v[202:203], s[20:21], v[42:43], v[60:61]
	v_fmac_f64_e32 v[136:137], s[16:17], v[28:29]
	v_fmac_f64_e32 v[166:167], s[20:21], v[34:35]
	v_add_f64 v[6:7], v[6:7], v[10:11]
	v_fmac_f64_e32 v[202:203], s[16:17], v[34:35]
	v_fmac_f64_e32 v[60:61], s[14:15], v[42:43]
	;; [unrolled: 1-line block ×9, first 2 shown]
	v_mul_f64 v[2:3], v[136:137], s[22:23]
	v_fmac_f64_e32 v[60:61], s[12:13], v[6:7]
	v_mul_f64 v[6:7], v[202:203], s[20:21]
	v_fmac_f64_e32 v[14:15], s[12:13], v[0:1]
	v_fma_f64 v[2:3], v[166:167], s[18:19], -v[2:3]
	v_fmac_f64_e32 v[6:7], s[12:13], v[198:199]
	v_mul_f64 v[10:11], v[58:59], s[12:13]
	v_add_f64 v[0:1], v[12:13], -v[24:25]
	v_add_f64 v[4:5], v[14:15], v[2:3]
	v_fma_f64 v[10:11], v[60:61], s[20:21], -v[10:11]
	ds_write2_b64 v220, v[4:5], v[0:1] offset0:36 offset1:45
	v_add_f64 v[0:1], v[18:19], -v[44:45]
	v_add_f64 v[4:5], v[118:119], -v[6:7]
	ds_write2_b64 v220, v[0:1], v[4:5] offset0:54 offset1:63
	v_add_f64 v[0:1], v[108:109], -v[10:11]
	v_add_f64 v[2:3], v[14:15], -v[2:3]
	;; [unrolled: 3-line block ×3, first 2 shown]
	v_add_f64 v[206:207], v[0:1], v[2:3]
	v_add_f64 v[0:1], v[138:139], v[48:49]
	;; [unrolled: 1-line block ×9, first 2 shown]
	v_add_f64 v[106:107], v[106:107], -v[158:159]
	v_add_f64 v[158:159], v[158:159], v[126:127]
	v_add_f64 v[204:205], v[40:41], -v[32:33]
	v_fma_f64 v[212:213], -0.5, v[0:1], v[52:53]
	v_add_f64 v[124:125], v[124:125], -v[126:127]
	v_fma_f64 v[52:53], -0.5, v[158:159], v[52:53]
	v_add_f64 v[36:37], v[108:109], v[10:11]
	v_add_f64 v[108:109], v[8:9], -v[20:21]
	v_add_f64 v[106:107], v[106:107], v[124:125]
	v_fma_f64 v[124:125], s[20:21], v[204:205], v[52:53]
	v_fmac_f64_e32 v[52:53], s[14:15], v[204:205]
	v_fmac_f64_e32 v[124:125], s[16:17], v[108:109]
	;; [unrolled: 1-line block ×3, first 2 shown]
	v_fma_f64 v[214:215], s[14:15], v[108:109], v[212:213]
	v_fmac_f64_e32 v[124:125], s[12:13], v[106:107]
	v_fmac_f64_e32 v[52:53], s[12:13], v[106:107]
	v_mul_f64 v[106:107], v[128:129], s[14:15]
	v_mul_f64 v[126:127], v[150:151], s[12:13]
	v_fmac_f64_e32 v[212:213], s[20:21], v[108:109]
	v_fmac_f64_e32 v[106:107], s[12:13], v[130:131]
	v_fma_f64 v[126:127], v[148:149], s[14:15], -v[126:127]
	v_fmac_f64_e32 v[212:213], s[18:19], v[204:205]
	v_mul_f64 v[108:109], v[162:163], s[22:23]
	v_add_f64 v[30:31], v[118:119], v[6:7]
	v_mul_f64 v[208:209], v[218:219], s[16:17]
	v_fmac_f64_e32 v[214:215], s[16:17], v[204:205]
	v_add_f64 v[128:129], v[124:125], v[106:107]
	v_add_f64 v[130:131], v[52:53], v[126:127]
	v_fmac_f64_e32 v[212:213], s[12:13], v[206:207]
	v_fma_f64 v[108:109], v[160:161], s[16:17], -v[108:109]
	ds_write2_b64 v220, v[30:31], v[36:37] offset0:18 offset1:27
	v_fmac_f64_e32 v[208:209], s[22:23], v[224:225]
	v_fmac_f64_e32 v[214:215], s[12:13], v[206:207]
	s_waitcnt lgkmcnt(0)
	s_barrier
	v_add_u32_e32 v164, 0x1000, v174
	ds_read_b64 v[120:121], v180
	ds_read_b64 v[118:119], v181
	;; [unrolled: 1-line block ×4, first 2 shown]
	ds_read2_b64 v[0:3], v174 offset1:108
	ds_read2_b64 v[48:51], v176 offset0:56 offset1:164
	ds_read2_b64 v[12:15], v188 offset0:104 offset1:212
	;; [unrolled: 1-line block ×12, first 2 shown]
	s_waitcnt lgkmcnt(0)
	s_barrier
	ds_write2_b64 v171, v[128:129], v[130:131] offset0:18 offset1:27
	v_add_f64 v[128:129], v[210:211], -v[138:139]
	v_add_f64 v[130:131], v[212:213], v[108:109]
	ds_write2_b64 v171, v[130:131], v[128:129] offset0:36 offset1:45
	v_add_f64 v[128:129], v[214:215], -v[208:209]
	v_add_f64 v[106:107], v[124:125], -v[106:107]
	ds_write2_b64 v171, v[128:129], v[106:107] offset0:54 offset1:63
	v_add_f64 v[52:53], v[52:53], -v[126:127]
	v_add_f64 v[106:107], v[212:213], -v[108:109]
	ds_write2_b64 v171, v[52:53], v[106:107] offset0:72 offset1:81
	v_add_f64 v[52:53], v[92:93], -v[104:105]
	v_add_f64 v[92:93], v[98:99], -v[102:103]
	v_add_f64 v[98:99], v[90:91], v[96:97]
	v_add_f64 v[104:105], v[84:85], v[100:101]
	v_fma_f64 v[98:99], -0.5, v[98:99], v[54:55]
	v_add_f64 v[102:103], v[54:55], v[84:85]
	v_fmac_f64_e32 v[54:55], -0.5, v[104:105]
	v_mul_f64 v[82:83], v[82:83], s[12:13]
	v_add_f64 v[104:105], v[90:91], -v[84:85]
	v_add_f64 v[106:107], v[96:97], -v[100:101]
	v_fma_f64 v[80:81], v[80:81], s[14:15], -v[82:83]
	v_fma_f64 v[82:83], s[20:21], v[92:93], v[54:55]
	v_fmac_f64_e32 v[54:55], s[14:15], v[92:93]
	v_add_f64 v[104:105], v[104:105], v[106:107]
	v_fmac_f64_e32 v[54:55], s[18:19], v[52:53]
	v_add_f64 v[56:57], v[144:145], v[56:57]
	v_fmac_f64_e32 v[54:55], s[12:13], v[104:105]
	v_add_f64 v[56:57], v[56:57], v[64:65]
	v_add_f64 v[106:107], v[54:55], v[80:81]
	v_add_f64 v[54:55], v[54:55], -v[80:81]
	v_add_f64 v[80:81], v[102:103], v[90:91]
	v_add_f64 v[84:85], v[84:85], -v[90:91]
	v_add_f64 v[90:91], v[100:101], -v[96:97]
	v_add_f64 v[56:57], v[56:57], v[66:67]
	v_fma_f64 v[66:67], s[14:15], v[52:53], v[98:99]
	v_add_f64 v[80:81], v[80:81], v[96:97]
	v_add_f64 v[84:85], v[84:85], v[90:91]
	v_mul_f64 v[64:65], v[132:133], s[16:17]
	v_fmac_f64_e32 v[66:67], s[16:17], v[92:93]
	v_add_f64 v[80:81], v[80:81], v[100:101]
	v_fmac_f64_e32 v[64:65], s[22:23], v[134:135]
	v_fmac_f64_e32 v[66:67], s[12:13], v[84:85]
	v_add_f64 v[216:217], v[210:211], v[138:139]
	v_add_f64 v[218:219], v[214:215], v[208:209]
	;; [unrolled: 1-line block ×4, first 2 shown]
	ds_write2_b64 v171, v[216:217], v[218:219] offset1:9
	ds_write2_b64 v165, v[90:91], v[96:97] offset1:9
	v_fmac_f64_e32 v[82:83], s[16:17], v[52:53]
	v_mul_f64 v[90:91], v[146:147], s[14:15]
	v_fmac_f64_e32 v[98:99], s[20:21], v[52:53]
	v_fmac_f64_e32 v[82:83], s[12:13], v[104:105]
	;; [unrolled: 1-line block ×4, first 2 shown]
	v_add_f64 v[96:97], v[82:83], v[90:91]
	v_fmac_f64_e32 v[98:99], s[12:13], v[84:85]
	v_add_f64 v[64:65], v[66:67], -v[64:65]
	v_add_f64 v[66:67], v[82:83], -v[90:91]
	;; [unrolled: 1-line block ×4, first 2 shown]
	v_add_f64 v[82:83], v[82:83], v[84:85]
	v_add_f64 v[84:85], v[72:73], v[76:77]
	v_add_f64 v[68:69], v[68:69], -v[94:95]
	v_fma_f64 v[84:85], -0.5, v[84:85], v[142:143]
	v_add_f64 v[74:75], v[74:75], -v[88:89]
	v_fma_f64 v[88:89], s[14:15], v[68:69], v[84:85]
	v_fmac_f64_e32 v[84:85], s[20:21], v[68:69]
	v_fmac_f64_e32 v[88:89], s[16:17], v[74:75]
	;; [unrolled: 1-line block ×5, first 2 shown]
	v_add_f64 v[82:83], v[142:143], v[62:63]
	v_add_f64 v[90:91], v[62:63], v[86:87]
	;; [unrolled: 1-line block ×3, first 2 shown]
	v_fmac_f64_e32 v[142:143], -0.5, v[90:91]
	v_add_f64 v[62:63], v[72:73], -v[62:63]
	v_add_f64 v[72:73], v[82:83], v[76:77]
	v_add_f64 v[76:77], v[76:77], -v[86:87]
	v_add_f64 v[62:63], v[62:63], v[76:77]
	v_fma_f64 v[76:77], s[20:21], v[74:75], v[142:143]
	v_fmac_f64_e32 v[142:143], s[14:15], v[74:75]
	v_fmac_f64_e32 v[76:77], s[16:17], v[68:69]
	;; [unrolled: 1-line block ×3, first 2 shown]
	v_mul_f64 v[52:53], v[114:115], s[22:23]
	v_fmac_f64_e32 v[76:77], s[12:13], v[62:63]
	v_fmac_f64_e32 v[142:143], s[12:13], v[62:63]
	v_add_f64 v[62:63], v[200:201], v[70:71]
	v_mul_f64 v[60:61], v[60:61], s[12:13]
	v_fma_f64 v[52:53], v[112:113], s[16:17], -v[52:53]
	v_add_f64 v[62:63], v[62:63], v[78:79]
	v_mul_f64 v[68:69], v[140:141], s[16:17]
	v_mul_f64 v[70:71], v[198:199], s[14:15]
	v_fma_f64 v[58:59], v[58:59], s[14:15], -v[60:61]
	v_mul_f64 v[60:61], v[166:167], s[22:23]
	v_add_f64 v[56:57], v[80:81], -v[56:57]
	v_add_f64 v[80:81], v[98:99], v[52:53]
	v_add_f64 v[52:53], v[98:99], -v[52:53]
	v_add_f64 v[72:73], v[72:73], v[86:87]
	v_add_f64 v[62:63], v[62:63], v[110:111]
	v_fmac_f64_e32 v[68:69], s[22:23], v[196:197]
	v_fmac_f64_e32 v[70:71], s[12:13], v[202:203]
	v_fma_f64 v[60:61], v[136:137], s[16:17], -v[60:61]
	s_movk_i32 s12, 0x5a
	ds_write2_b64 v165, v[96:97], v[106:107] offset0:18 offset1:27
	v_add_f64 v[74:75], v[72:73], v[62:63]
	v_add_f64 v[62:63], v[72:73], -v[62:63]
	v_add_f64 v[72:73], v[88:89], v[68:69]
	v_add_f64 v[68:69], v[88:89], -v[68:69]
	;; [unrolled: 2-line block ×5, first 2 shown]
	ds_write2_b64 v165, v[80:81], v[56:57] offset0:36 offset1:45
	ds_write2_b64 v165, v[64:65], v[66:67] offset0:54 offset1:63
	;; [unrolled: 1-line block ×3, first 2 shown]
	ds_write2_b64 v220, v[74:75], v[72:73] offset1:9
	ds_write2_b64 v220, v[78:79], v[76:77] offset0:18 offset1:27
	ds_write2_b64 v220, v[82:83], v[62:63] offset0:36 offset1:45
	;; [unrolled: 1-line block ×4, first 2 shown]
	v_add_u32_e32 v52, 0xffffffa6, v172
	v_cmp_gt_u32_e32 vcc, s12, v172
	s_movk_i32 s12, 0xb7
	v_mov_b32_e32 v141, 0
	v_cndmask_b32_e32 v130, v52, v172, vcc
	v_mul_i32_i24_e32 v140, 5, v130
	v_mul_lo_u16_sdwa v56, v168, s12 dst_sel:DWORD dst_unused:UNUSED_PAD src0_sel:BYTE_0 src1_sel:DWORD
	v_lshl_add_u64 v[124:125], v[140:141], 4, s[8:9]
	v_lshrrev_b16_e32 v131, 14, v56
	s_waitcnt lgkmcnt(0)
	s_barrier
	global_load_dwordx4 v[52:55], v[124:125], off offset:1408
	v_mul_lo_u16_e32 v56, 0x5a, v131
	v_sub_u16_e32 v132, v168, v56
	v_mul_u32_u24_sdwa v56, v132, v170 dst_sel:DWORD dst_unused:UNUSED_PAD src0_sel:BYTE_0 src1_sel:DWORD
	v_lshlrev_b32_e32 v68, 4, v56
	global_load_dwordx4 v[64:67], v68, s[8:9] offset:1408
	global_load_dwordx4 v[60:63], v[124:125], off offset:1440
	global_load_dwordx4 v[56:59], v68, s[8:9] offset:1440
	global_load_dwordx4 v[72:75], v68, s[8:9] offset:1392
	s_movk_i32 s12, 0x2d83
	v_mul_u32_u24_sdwa v69, v179, s12 dst_sel:DWORD dst_unused:UNUSED_PAD src0_sel:WORD_0 src1_sel:DWORD
	v_lshrrev_b32_e32 v133, 20, v69
	v_mul_lo_u16_e32 v69, 0x5a, v133
	v_sub_u16_e32 v134, v179, v69
	v_mul_u32_u24_e32 v69, 5, v134
	v_lshlrev_b32_e32 v69, 4, v69
	global_load_dwordx4 v[76:79], v69, s[8:9] offset:1392
	global_load_dwordx4 v[80:83], v68, s[8:9] offset:1424
	;; [unrolled: 1-line block ×5, first 2 shown]
	v_mul_u32_u24_sdwa v68, v182, s12 dst_sel:DWORD dst_unused:UNUSED_PAD src0_sel:WORD_0 src1_sel:DWORD
	v_lshrrev_b32_e32 v135, 20, v68
	v_mul_lo_u16_e32 v68, 0x5a, v135
	global_load_dwordx4 v[96:99], v69, s[8:9] offset:1408
	v_sub_u16_e32 v136, v182, v68
	v_mul_u32_u24_e32 v68, 5, v136
	v_lshlrev_b32_e32 v139, 4, v68
	global_load_dwordx4 v[100:103], v139, s[8:9] offset:1408
	global_load_dwordx4 v[104:107], v69, s[8:9] offset:1440
	;; [unrolled: 1-line block ×3, first 2 shown]
	v_mul_u32_u24_sdwa v68, v186, s12 dst_sel:DWORD dst_unused:UNUSED_PAD src0_sel:WORD_0 src1_sel:DWORD
	v_lshrrev_b32_e32 v137, 20, v68
	v_mul_lo_u16_e32 v68, 0x5a, v137
	v_sub_u16_e32 v138, v186, v68
	global_load_dwordx4 v[112:115], v139, s[8:9] offset:1392
	v_mul_u32_u24_e32 v68, 5, v138
	v_lshlrev_b32_e32 v140, 4, v68
	ds_read2_b64 v[142:145], v176 offset0:56 offset1:164
	global_load_dwordx4 v[146:149], v140, s[8:9] offset:1392
	global_load_dwordx4 v[150:153], v[124:125], off offset:1424
	global_load_dwordx4 v[68:71], v[124:125], off offset:1392
	global_load_dwordx4 v[158:161], v140, s[8:9] offset:1408
	global_load_dwordx4 v[196:199], v139, s[8:9] offset:1424
	;; [unrolled: 1-line block ×3, first 2 shown]
	global_load_dwordx4 v[200:203], v[124:125], off offset:1456
	global_load_dwordx4 v[208:211], v140, s[8:9] offset:1440
	global_load_dwordx4 v[216:219], v140, s[8:9] offset:1456
	ds_read2_b64 v[204:207], v164 offset0:136 offset1:244
	s_movk_i32 s12, 0x59
	v_cmp_lt_u32_e32 vcc, s12, v172
	s_movk_i32 s13, 0x2000
	s_movk_i32 s12, 0x4000
	s_waitcnt vmcnt(23) lgkmcnt(1)
	v_mul_f64 v[126:127], v[142:143], v[54:55]
	v_fma_f64 v[126:127], v[48:49], v[52:53], -v[126:127]
	v_mul_f64 v[128:129], v[48:49], v[54:55]
	s_waitcnt vmcnt(22)
	v_mul_f64 v[48:49], v[144:145], v[66:67]
	v_fma_f64 v[48:49], v[50:51], v[64:65], -v[48:49]
	v_mul_f64 v[50:51], v[50:51], v[66:67]
	v_fmac_f64_e32 v[128:129], v[142:143], v[52:53]
	v_fmac_f64_e32 v[50:51], v[144:145], v[64:65]
	global_load_dwordx4 v[142:145], v140, s[8:9] offset:1424
	ds_read2_b64 v[52:55], v175 offset0:112 offset1:220
	s_waitcnt vmcnt(18)
	v_mul_f64 v[66:67], v[36:37], v[82:83]
	s_waitcnt vmcnt(16)
	v_mul_f64 v[124:125], v[32:33], v[86:87]
	s_waitcnt lgkmcnt(0)
	v_mul_f64 v[64:65], v[52:53], v[62:63]
	v_fma_f64 v[64:65], v[44:45], v[60:61], -v[64:65]
	v_mul_f64 v[62:63], v[44:45], v[62:63]
	v_mul_f64 v[44:45], v[54:55], v[58:59]
	;; [unrolled: 1-line block ×3, first 2 shown]
	v_fmac_f64_e32 v[62:63], v[52:53], v[60:61]
	v_fma_f64 v[60:61], v[46:47], v[56:57], -v[44:45]
	v_fmac_f64_e32 v[58:59], v[54:55], v[56:57]
	v_mul_f64 v[44:45], v[204:205], v[74:75]
	v_mul_f64 v[54:55], v[40:41], v[74:75]
	v_fma_f64 v[52:53], v[40:41], v[72:73], -v[44:45]
	v_fmac_f64_e32 v[54:55], v[204:205], v[72:73]
	ds_read2_b64 v[72:75], v178 offset0:64 offset1:172
	v_mul_f64 v[40:41], v[206:207], v[78:79]
	v_mul_f64 v[46:47], v[42:43], v[78:79]
	v_fma_f64 v[44:45], v[42:43], v[76:77], -v[40:41]
	v_fmac_f64_e32 v[46:47], v[206:207], v[76:77]
	ds_read2_b64 v[76:79], v177 offset0:120 offset1:228
	s_waitcnt lgkmcnt(1)
	v_mul_f64 v[40:41], v[72:73], v[82:83]
	v_fma_f64 v[42:43], v[36:37], v[80:81], -v[40:41]
	v_mul_f64 v[36:37], v[74:75], v[90:91]
	v_fma_f64 v[40:41], v[38:39], v[88:89], -v[36:37]
	v_mul_f64 v[36:37], v[38:39], v[90:91]
	v_fmac_f64_e32 v[66:67], v[72:73], v[80:81]
	v_fmac_f64_e32 v[36:37], v[74:75], v[88:89]
	ds_read2_b64 v[72:75], v183 offset0:16 offset1:124
	s_waitcnt lgkmcnt(1)
	v_mul_f64 v[38:39], v[76:77], v[86:87]
	v_fma_f64 v[38:39], v[32:33], v[84:85], -v[38:39]
	v_fmac_f64_e32 v[124:125], v[76:77], v[84:85]
	s_waitcnt vmcnt(15)
	v_mul_f64 v[84:85], v[34:35], v[94:95]
	v_mul_f64 v[32:33], v[78:79], v[94:95]
	v_fmac_f64_e32 v[84:85], v[78:79], v[92:93]
	ds_read2_b64 v[76:79], v184 offset0:72 offset1:180
	v_fma_f64 v[32:33], v[34:35], v[92:93], -v[32:33]
	s_waitcnt vmcnt(14) lgkmcnt(1)
	v_mul_f64 v[34:35], v[72:73], v[98:99]
	v_fma_f64 v[90:91], v[28:29], v[96:97], -v[34:35]
	v_mul_f64 v[92:93], v[28:29], v[98:99]
	s_waitcnt vmcnt(13)
	v_mul_f64 v[28:29], v[74:75], v[102:103]
	v_fma_f64 v[28:29], v[30:31], v[100:101], -v[28:29]
	v_mul_f64 v[30:31], v[30:31], v[102:103]
	v_fmac_f64_e32 v[92:93], v[72:73], v[96:97]
	v_fmac_f64_e32 v[30:31], v[74:75], v[100:101]
	s_waitcnt vmcnt(12) lgkmcnt(0)
	v_mul_f64 v[34:35], v[76:77], v[106:107]
	v_mul_f64 v[96:97], v[24:25], v[106:107]
	ds_read2_b64 v[72:75], v191 offset0:96 offset1:204
	s_waitcnt vmcnt(11)
	v_mul_f64 v[86:87], v[26:27], v[110:111]
	v_fma_f64 v[94:95], v[24:25], v[104:105], -v[34:35]
	v_fmac_f64_e32 v[96:97], v[76:77], v[104:105]
	v_mul_f64 v[24:25], v[78:79], v[110:111]
	v_fmac_f64_e32 v[86:87], v[78:79], v[108:109]
	ds_read2_b64 v[76:79], v188 offset0:104 offset1:212
	v_fma_f64 v[56:57], v[26:27], v[108:109], -v[24:25]
	s_waitcnt vmcnt(10)
	v_mul_f64 v[26:27], v[20:21], v[114:115]
	s_waitcnt lgkmcnt(1)
	v_mul_f64 v[24:25], v[72:73], v[114:115]
	v_fmac_f64_e32 v[26:27], v[72:73], v[112:113]
	s_waitcnt vmcnt(8)
	v_mul_f64 v[72:73], v[14:15], v[152:153]
	s_waitcnt lgkmcnt(0)
	v_mul_f64 v[34:35], v[78:79], v[152:153]
	v_fmac_f64_e32 v[72:73], v[78:79], v[150:151]
	ds_read2_b64 v[78:81], v193 offset0:24 offset1:132
	v_fma_f64 v[24:25], v[20:21], v[112:113], -v[24:25]
	v_mul_f64 v[20:21], v[74:75], v[148:149]
	v_fma_f64 v[20:21], v[22:23], v[146:147], -v[20:21]
	v_mul_f64 v[22:23], v[22:23], v[148:149]
	v_fmac_f64_e32 v[22:23], v[74:75], v[146:147]
	v_fma_f64 v[74:75], v[14:15], v[150:151], -v[34:35]
	s_waitcnt vmcnt(6)
	v_mul_f64 v[14:15], v[76:77], v[160:161]
	v_fma_f64 v[82:83], v[12:13], v[158:159], -v[14:15]
	v_mul_f64 v[88:89], v[12:13], v[160:161]
	s_waitcnt vmcnt(5) lgkmcnt(0)
	v_mul_f64 v[12:13], v[78:79], v[198:199]
	v_fma_f64 v[34:35], v[16:17], v[196:197], -v[12:13]
	v_mul_f64 v[16:17], v[16:17], v[198:199]
	v_fmac_f64_e32 v[88:89], v[76:77], v[158:159]
	v_fmac_f64_e32 v[16:17], v[78:79], v[196:197]
	ds_read2_b64 v[76:79], v189 offset0:32 offset1:140
	s_waitcnt vmcnt(0)
	v_mul_f64 v[12:13], v[80:81], v[144:145]
	v_fma_f64 v[14:15], v[18:19], v[142:143], -v[12:13]
	v_mul_f64 v[12:13], v[18:19], v[144:145]
	v_fmac_f64_e32 v[12:13], v[80:81], v[142:143]
	s_waitcnt lgkmcnt(0)
	v_mul_f64 v[18:19], v[78:79], v[202:203]
	v_fma_f64 v[18:19], v[10:11], v[200:201], -v[18:19]
	v_mul_f64 v[10:11], v[10:11], v[202:203]
	v_fmac_f64_e32 v[10:11], v[78:79], v[200:201]
	ds_read2_b64 v[78:81], v187 offset0:80 offset1:188
	v_mul_f64 v[100:101], v[8:9], v[210:211]
	v_mul_f64 v[98:99], v[76:77], v[210:211]
	v_fmac_f64_e32 v[100:101], v[76:77], v[208:209]
	ds_read_b64 v[76:77], v195
	ds_read_b64 v[106:107], v194
	v_fma_f64 v[98:99], v[8:9], v[208:209], -v[98:99]
	s_waitcnt lgkmcnt(2)
	v_mul_f64 v[8:9], v[78:79], v[214:215]
	v_fma_f64 v[8:9], v[4:5], v[212:213], -v[8:9]
	v_mul_f64 v[104:105], v[4:5], v[214:215]
	v_mul_f64 v[4:5], v[80:81], v[218:219]
	v_fma_f64 v[4:5], v[6:7], v[216:217], -v[4:5]
	v_mul_f64 v[102:103], v[6:7], v[218:219]
	s_waitcnt lgkmcnt(1)
	v_mul_f64 v[6:7], v[76:77], v[70:71]
	v_mul_f64 v[148:149], v[122:123], v[70:71]
	v_fma_f64 v[114:115], v[122:123], v[68:69], -v[6:7]
	v_fmac_f64_e32 v[148:149], v[76:77], v[68:69]
	v_add_f64 v[68:69], v[48:49], v[60:61]
	v_add_f64 v[6:7], v[2:3], v[48:49]
	v_fmac_f64_e32 v[2:3], -0.5, v[68:69]
	v_add_f64 v[68:69], v[50:51], -v[58:59]
	v_add_f64 v[76:77], v[42:43], v[38:39]
	v_fma_f64 v[70:71], s[2:3], v[68:69], v[2:3]
	v_fmac_f64_e32 v[2:3], s[4:5], v[68:69]
	v_add_f64 v[68:69], v[52:53], v[42:43]
	v_fmac_f64_e32 v[52:53], -0.5, v[76:77]
	v_add_f64 v[76:77], v[66:67], -v[124:125]
	v_add_f64 v[150:151], v[54:55], v[66:67]
	v_add_f64 v[66:67], v[66:67], v[124:125]
	v_fma_f64 v[122:123], s[2:3], v[76:77], v[52:53]
	v_fmac_f64_e32 v[52:53], s[4:5], v[76:77]
	v_fmac_f64_e32 v[54:55], -0.5, v[66:67]
	v_add_f64 v[42:43], v[42:43], -v[38:39]
	v_fma_f64 v[152:153], s[4:5], v[42:43], v[54:55]
	v_fmac_f64_e32 v[54:55], s[2:3], v[42:43]
	v_mul_f64 v[66:67], v[52:53], -0.5
	v_fmac_f64_e32 v[66:67], s[2:3], v[54:55]
	v_add_f64 v[76:77], v[2:3], v[66:67]
	v_add_f64 v[2:3], v[2:3], -v[66:67]
	v_add_f64 v[66:67], v[114:115], v[74:75]
	v_fmac_f64_e32 v[104:105], v[78:79], v[212:213]
	v_add_f64 v[78:79], v[74:75], v[18:19]
	v_add_f64 v[66:67], v[66:67], v[18:19]
	v_add_f64 v[18:19], v[74:75], -v[18:19]
	v_mov_b32_e32 v74, 0x10e0
	v_fmac_f64_e32 v[102:103], v[80:81], v[216:217]
	v_fmac_f64_e32 v[114:115], -0.5, v[78:79]
	v_add_f64 v[78:79], v[148:149], v[72:73]
	v_add_f64 v[80:81], v[72:73], v[10:11]
	v_cndmask_b32_e32 v74, 0, v74, vcc
	v_lshlrev_b32_e32 v75, 3, v130
	v_add_f64 v[72:73], v[72:73], -v[10:11]
	v_add_f64 v[42:43], v[126:127], v[64:65]
	v_fmac_f64_e32 v[148:149], -0.5, v[80:81]
	v_add3_u32 v140, 0, v74, v75
	v_fma_f64 v[74:75], s[2:3], v[72:73], v[114:115]
	v_fmac_f64_e32 v[114:115], s[4:5], v[72:73]
	v_fma_f64 v[42:43], -0.5, v[42:43], v[0:1]
	v_add_f64 v[0:1], v[0:1], v[126:127]
	v_fma_f64 v[80:81], s[4:5], v[18:19], v[148:149]
	v_add_f64 v[112:113], v[128:129], -v[62:63]
	v_fmac_f64_e32 v[148:149], s[2:3], v[18:19]
	v_mul_f64 v[18:19], v[114:115], -0.5
	v_add_f64 v[0:1], v[0:1], v[64:65]
	v_mul_f64 v[108:109], v[80:81], s[2:3]
	v_fma_f64 v[146:147], s[2:3], v[112:113], v[42:43]
	v_fmac_f64_e32 v[42:43], s[4:5], v[112:113]
	v_fmac_f64_e32 v[18:19], s[2:3], v[148:149]
	v_fmac_f64_e32 v[108:109], 0.5, v[74:75]
	v_add_f64 v[160:161], v[0:1], v[66:67]
	v_add_f64 v[0:1], v[0:1], -v[66:67]
	v_add_u32_e32 v165, 0x400, v140
	v_add_f64 v[66:67], v[42:43], v[18:19]
	ds_read_b64 v[158:159], v180
	ds_read_b64 v[110:111], v181
	ds_read2_b64 v[142:145], v174 offset1:108
	s_waitcnt lgkmcnt(0)
	s_barrier
	ds_write2_b64 v165, v[66:67], v[0:1] offset0:52 offset1:142
	v_add_f64 v[0:1], v[146:147], -v[108:109]
	v_add_f64 v[18:19], v[42:43], -v[18:19]
	v_add_u32_e32 v200, 0x800, v140
	ds_write2_b64 v200, v[0:1], v[18:19] offset0:104 offset1:194
	v_lshlrev_b32_sdwa v18, v169, v132 dst_sel:DWORD dst_unused:UNUSED_PAD src0_sel:DWORD src1_sel:BYTE_0
	v_mul_u32_u24_e32 v19, 0x10e0, v131
	v_add_f64 v[0:1], v[68:69], v[38:39]
	v_add3_u32 v169, 0, v19, v18
	v_add_f64 v[6:7], v[6:7], v[60:61]
	v_mul_f64 v[18:19], v[152:153], s[2:3]
	v_add_f64 v[162:163], v[146:147], v[108:109]
	v_fmac_f64_e32 v[18:19], 0.5, v[122:123]
	v_add_f64 v[38:39], v[6:7], v[0:1]
	v_add_f64 v[0:1], v[6:7], -v[0:1]
	v_add_u32_e32 v201, 0x400, v169
	ds_write2_b64 v140, v[160:161], v[162:163] offset1:90
	ds_write2_b64 v201, v[76:77], v[0:1] offset0:52 offset1:142
	v_add_f64 v[0:1], v[70:71], -v[18:19]
	v_add_u32_e32 v202, 0x800, v169
	v_add_f64 v[42:43], v[70:71], v[18:19]
	ds_write2_b64 v202, v[0:1], v[2:3] offset0:104 offset1:194
	v_add_f64 v[2:3], v[90:91], v[94:95]
	v_add_f64 v[6:7], v[40:41], v[32:33]
	v_mul_u32_u24_e32 v18, 0x10e0, v133
	v_lshlrev_b32_e32 v19, 3, v134
	v_add_f64 v[0:1], v[120:121], v[90:91]
	v_fmac_f64_e32 v[120:121], -0.5, v[2:3]
	v_add_f64 v[2:3], v[44:45], v[40:41]
	v_fmac_f64_e32 v[44:45], -0.5, v[6:7]
	v_add_f64 v[6:7], v[36:37], v[84:85]
	v_add3_u32 v203, 0, v18, v19
	v_add_f64 v[18:19], v[36:37], -v[84:85]
	v_add_f64 v[130:131], v[46:47], v[36:37]
	v_fmac_f64_e32 v[46:47], -0.5, v[6:7]
	v_add_f64 v[2:3], v[2:3], v[32:33]
	v_add_f64 v[6:7], v[40:41], -v[32:33]
	v_add_f64 v[0:1], v[0:1], v[94:95]
	v_fma_f64 v[132:133], s[2:3], v[18:19], v[44:45]
	v_fmac_f64_e32 v[44:45], s[4:5], v[18:19]
	v_fma_f64 v[160:161], s[4:5], v[6:7], v[46:47]
	v_add_f64 v[36:37], v[92:93], -v[96:97]
	v_add_f64 v[40:41], v[0:1], v[2:3]
	v_fmac_f64_e32 v[46:47], s[2:3], v[6:7]
	v_add_f64 v[0:1], v[0:1], -v[2:3]
	v_mul_f64 v[2:3], v[44:45], -0.5
	ds_write2_b64 v169, v[38:39], v[42:43] offset1:90
	v_mul_f64 v[32:33], v[160:161], s[2:3]
	v_fma_f64 v[38:39], s[2:3], v[36:37], v[120:121]
	v_fmac_f64_e32 v[120:121], s[4:5], v[36:37]
	v_fmac_f64_e32 v[2:3], s[2:3], v[46:47]
	v_fmac_f64_e32 v[32:33], 0.5, v[132:133]
	v_add_u32_e32 v204, 0x400, v203
	v_add_f64 v[6:7], v[120:121], v[2:3]
	ds_write2_b64 v204, v[6:7], v[0:1] offset0:52 offset1:142
	v_add_f64 v[0:1], v[38:39], -v[32:33]
	v_add_f64 v[2:3], v[120:121], -v[2:3]
	v_add_u32_e32 v205, 0x800, v203
	ds_write2_b64 v205, v[0:1], v[2:3] offset0:104 offset1:194
	v_add_f64 v[2:3], v[28:29], v[56:57]
	v_add_f64 v[6:7], v[34:35], v[8:9]
	;; [unrolled: 1-line block ×3, first 2 shown]
	v_fmac_f64_e32 v[118:119], -0.5, v[2:3]
	v_add_f64 v[2:3], v[24:25], v[34:35]
	v_fmac_f64_e32 v[24:25], -0.5, v[6:7]
	v_add_f64 v[6:7], v[16:17], v[104:105]
	v_add_f64 v[120:121], v[26:27], v[16:17]
	v_fmac_f64_e32 v[26:27], -0.5, v[6:7]
	v_add_f64 v[2:3], v[2:3], v[8:9]
	v_add_f64 v[6:7], v[34:35], -v[8:9]
	v_mul_u32_u24_e32 v8, 0x10e0, v135
	v_lshlrev_b32_e32 v9, 3, v136
	v_add3_u32 v206, 0, v8, v9
	v_add_f64 v[8:9], v[16:17], -v[104:105]
	v_add_f64 v[0:1], v[0:1], v[56:57]
	v_fma_f64 v[134:135], s[2:3], v[8:9], v[24:25]
	v_fmac_f64_e32 v[24:25], s[4:5], v[8:9]
	v_fma_f64 v[162:163], s[4:5], v[6:7], v[26:27]
	v_add_f64 v[18:19], v[30:31], -v[86:87]
	v_add_f64 v[34:35], v[0:1], v[2:3]
	v_fmac_f64_e32 v[26:27], s[2:3], v[6:7]
	v_add_f64 v[0:1], v[0:1], -v[2:3]
	v_mul_f64 v[2:3], v[24:25], -0.5
	v_add_f64 v[42:43], v[38:39], v[32:33]
	v_mul_f64 v[16:17], v[162:163], s[2:3]
	v_fma_f64 v[32:33], s[2:3], v[18:19], v[118:119]
	v_fmac_f64_e32 v[118:119], s[4:5], v[18:19]
	v_fmac_f64_e32 v[2:3], s[2:3], v[26:27]
	v_fmac_f64_e32 v[16:17], 0.5, v[134:135]
	v_add_u32_e32 v207, 0x400, v206
	v_add_f64 v[6:7], v[118:119], v[2:3]
	ds_write2_b64 v203, v[40:41], v[42:43] offset1:90
	ds_write2_b64 v207, v[6:7], v[0:1] offset0:52 offset1:142
	v_add_f64 v[0:1], v[32:33], -v[16:17]
	v_add_f64 v[2:3], v[118:119], -v[2:3]
	v_add_u32_e32 v208, 0x800, v206
	ds_write2_b64 v208, v[0:1], v[2:3] offset0:104 offset1:194
	v_add_f64 v[2:3], v[82:83], v[98:99]
	v_add_f64 v[6:7], v[14:15], v[4:5]
	;; [unrolled: 1-line block ×3, first 2 shown]
	v_fmac_f64_e32 v[116:117], -0.5, v[2:3]
	v_add_f64 v[2:3], v[20:21], v[14:15]
	v_fmac_f64_e32 v[20:21], -0.5, v[6:7]
	v_add_f64 v[6:7], v[12:13], v[102:103]
	v_add_f64 v[118:119], v[22:23], v[12:13]
	v_fmac_f64_e32 v[22:23], -0.5, v[6:7]
	v_mul_u32_u24_e32 v6, 0x10e0, v137
	v_lshlrev_b32_e32 v7, 3, v138
	v_add3_u32 v209, 0, v6, v7
	v_add_f64 v[6:7], v[12:13], -v[102:103]
	v_add_f64 v[2:3], v[2:3], v[4:5]
	v_add_f64 v[4:5], v[14:15], -v[4:5]
	v_add_f64 v[0:1], v[0:1], v[98:99]
	v_fma_f64 v[136:137], s[2:3], v[6:7], v[20:21]
	v_fmac_f64_e32 v[20:21], s[4:5], v[6:7]
	v_add_f64 v[36:37], v[32:33], v[16:17]
	v_fma_f64 v[138:139], s[4:5], v[4:5], v[22:23]
	v_add_f64 v[12:13], v[88:89], -v[100:101]
	v_add_f64 v[16:17], v[0:1], v[2:3]
	v_fmac_f64_e32 v[22:23], s[2:3], v[4:5]
	v_add_f64 v[0:1], v[0:1], -v[2:3]
	v_mul_f64 v[2:3], v[20:21], -0.5
	v_mul_f64 v[8:9], v[138:139], s[2:3]
	v_fma_f64 v[14:15], s[2:3], v[12:13], v[116:117]
	v_fmac_f64_e32 v[116:117], s[4:5], v[12:13]
	v_fmac_f64_e32 v[2:3], s[2:3], v[22:23]
	v_fmac_f64_e32 v[8:9], 0.5, v[136:137]
	v_add_u32_e32 v210, 0x400, v209
	v_add_f64 v[4:5], v[116:117], v[2:3]
	ds_write2_b64 v206, v[34:35], v[36:37] offset1:90
	ds_write2_b64 v210, v[4:5], v[0:1] offset0:52 offset1:142
	v_add_f64 v[0:1], v[14:15], -v[8:9]
	v_add_f64 v[2:3], v[116:117], -v[2:3]
	v_add_u32_e32 v211, 0x800, v209
	ds_write2_b64 v211, v[0:1], v[2:3] offset0:104 offset1:194
	v_add_f64 v[0:1], v[142:143], v[128:129]
	v_add_f64 v[18:19], v[14:15], v[8:9]
	;; [unrolled: 1-line block ×4, first 2 shown]
	v_mul_f64 v[166:167], v[74:75], s[4:5]
	ds_write2_b64 v209, v[16:17], v[18:19] offset1:90
	v_add_f64 v[126:127], v[126:127], -v[64:65]
	v_add_f64 v[128:129], v[78:79], v[10:11]
	v_fmac_f64_e32 v[166:167], 0.5, v[80:81]
	v_fma_f64 v[170:171], -0.5, v[0:1], v[142:143]
	s_waitcnt lgkmcnt(0)
	s_barrier
	ds_read_b64 v[146:147], v180
	ds_read_b64 v[142:143], v195
	;; [unrolled: 1-line block ×4, first 2 shown]
	ds_read2_b64 v[0:3], v174 offset1:108
	ds_read2_b64 v[16:19], v176 offset0:56 offset1:164
	ds_read2_b64 v[8:11], v188 offset0:104 offset1:212
	;; [unrolled: 1-line block ×12, first 2 shown]
	v_fma_f64 v[194:195], s[4:5], v[126:127], v[170:171]
	v_fmac_f64_e32 v[170:171], s[2:3], v[126:127]
	v_mul_f64 v[126:127], v[148:149], -0.5
	v_fmac_f64_e32 v[126:127], s[4:5], v[114:115]
	v_add_f64 v[196:197], v[116:117], v[128:129]
	v_add_f64 v[114:115], v[116:117], -v[128:129]
	v_add_f64 v[116:117], v[170:171], v[126:127]
	s_waitcnt lgkmcnt(0)
	s_barrier
	ds_write2_b64 v165, v[116:117], v[114:115] offset0:52 offset1:142
	v_add_f64 v[114:115], v[194:195], -v[166:167]
	v_add_f64 v[116:117], v[170:171], -v[126:127]
	ds_write2_b64 v200, v[114:115], v[116:117] offset0:104 offset1:194
	v_add_f64 v[114:115], v[144:145], v[50:51]
	v_add_f64 v[50:51], v[50:51], v[58:59]
	v_fmac_f64_e32 v[144:145], -0.5, v[50:51]
	v_add_f64 v[48:49], v[48:49], -v[60:61]
	v_fma_f64 v[60:61], s[4:5], v[48:49], v[144:145]
	v_fmac_f64_e32 v[144:145], s[2:3], v[48:49]
	v_mul_f64 v[48:49], v[54:55], -0.5
	v_add_f64 v[114:115], v[114:115], v[58:59]
	v_add_f64 v[50:51], v[150:151], v[124:125]
	v_mul_f64 v[58:59], v[122:123], s[4:5]
	v_fmac_f64_e32 v[48:49], s[4:5], v[52:53]
	v_add_f64 v[198:199], v[194:195], v[166:167]
	v_fmac_f64_e32 v[58:59], 0.5, v[152:153]
	v_add_f64 v[116:117], v[114:115], v[50:51]
	v_add_f64 v[50:51], v[114:115], -v[50:51]
	v_add_f64 v[52:53], v[144:145], v[48:49]
	ds_write2_b64 v140, v[196:197], v[198:199] offset1:90
	ds_write2_b64 v201, v[52:53], v[50:51] offset0:52 offset1:142
	v_add_f64 v[48:49], v[144:145], -v[48:49]
	v_add_f64 v[50:51], v[60:61], -v[58:59]
	ds_write2_b64 v202, v[50:51], v[48:49] offset0:104 offset1:194
	v_add_f64 v[50:51], v[92:93], v[96:97]
	v_add_f64 v[48:49], v[158:159], v[92:93]
	v_fmac_f64_e32 v[158:159], -0.5, v[50:51]
	v_add_f64 v[50:51], v[90:91], -v[94:95]
	v_mul_f64 v[46:47], v[46:47], -0.5
	v_add_f64 v[122:123], v[60:61], v[58:59]
	v_add_f64 v[48:49], v[48:49], v[96:97]
	;; [unrolled: 1-line block ×3, first 2 shown]
	v_mul_f64 v[54:55], v[132:133], s[4:5]
	v_fma_f64 v[58:59], s[4:5], v[50:51], v[158:159]
	v_fmac_f64_e32 v[158:159], s[2:3], v[50:51]
	v_fmac_f64_e32 v[46:47], s[4:5], v[44:45]
	v_fmac_f64_e32 v[54:55], 0.5, v[160:161]
	v_add_f64 v[60:61], v[48:49], v[52:53]
	v_add_f64 v[44:45], v[48:49], -v[52:53]
	v_add_f64 v[48:49], v[158:159], v[46:47]
	ds_write2_b64 v169, v[116:117], v[122:123] offset1:90
	v_add_f64 v[84:85], v[58:59], v[54:55]
	ds_write2_b64 v204, v[48:49], v[44:45] offset0:52 offset1:142
	v_add_f64 v[44:45], v[58:59], -v[54:55]
	v_add_f64 v[48:49], v[110:111], v[30:31]
	v_add_f64 v[30:31], v[30:31], v[86:87]
	;; [unrolled: 1-line block ×3, first 2 shown]
	v_fmac_f64_e32 v[110:111], -0.5, v[30:31]
	v_add_f64 v[28:29], v[28:29], -v[56:57]
	v_mul_f64 v[50:51], v[134:135], s[4:5]
	v_mul_f64 v[26:27], v[26:27], -0.5
	v_add_f64 v[52:53], v[106:107], v[88:89]
	v_fmac_f64_e32 v[106:107], -0.5, v[54:55]
	v_add_f64 v[54:55], v[82:83], -v[98:99]
	v_mul_f64 v[58:59], v[136:137], s[4:5]
	v_mul_f64 v[22:23], v[22:23], -0.5
	v_add_f64 v[46:47], v[158:159], -v[46:47]
	v_add_f64 v[48:49], v[48:49], v[86:87]
	v_fma_f64 v[30:31], s[4:5], v[28:29], v[110:111]
	v_fmac_f64_e32 v[110:111], s[2:3], v[28:29]
	v_add_f64 v[28:29], v[120:121], v[104:105]
	v_fmac_f64_e32 v[50:51], 0.5, v[162:163]
	v_fmac_f64_e32 v[26:27], s[4:5], v[24:25]
	v_add_f64 v[52:53], v[52:53], v[100:101]
	v_fma_f64 v[56:57], s[4:5], v[54:55], v[106:107]
	v_fmac_f64_e32 v[106:107], s[2:3], v[54:55]
	v_add_f64 v[54:55], v[118:119], v[102:103]
	v_fmac_f64_e32 v[58:59], 0.5, v[138:139]
	v_fmac_f64_e32 v[22:23], s[4:5], v[20:21]
	ds_write2_b64 v203, v[60:61], v[84:85] offset1:90
	v_add_f64 v[24:25], v[48:49], v[28:29]
	v_add_f64 v[28:29], v[48:49], -v[28:29]
	v_add_f64 v[48:49], v[30:31], v[50:51]
	v_add_f64 v[30:31], v[30:31], -v[50:51]
	;; [unrolled: 2-line block ×6, first 2 shown]
	ds_write2_b64 v205, v[44:45], v[46:47] offset0:104 offset1:194
	ds_write2_b64 v206, v[24:25], v[48:49] offset1:90
	ds_write2_b64 v207, v[50:51], v[28:29] offset0:52 offset1:142
	ds_write2_b64 v208, v[30:31], v[26:27] offset0:104 offset1:194
	ds_write2_b64 v209, v[20:21], v[54:55] offset1:90
	ds_write2_b64 v210, v[58:59], v[52:53] offset0:52 offset1:142
	ds_write2_b64 v211, v[56:57], v[22:23] offset0:104 offset1:194
	s_waitcnt lgkmcnt(0)
	s_barrier
	s_and_saveexec_b64 s[14:15], s[0:1]
	s_cbranch_execz .LBB0_15
; %bb.14:
	v_mul_u32_u24_e32 v20, 5, v186
	v_lshlrev_b32_e32 v140, 4, v20
	v_lshl_add_u64 v[44:45], s[8:9], 0, v[140:141]
	s_mov_b64 s[0:1], 0x2190
	v_lshl_add_u64 v[28:29], v[44:45], 0, s[0:1]
	v_add_co_u32_e32 v52, vcc, 0x2000, v44
	global_load_dwordx4 v[20:23], v[28:29], off offset:16
	global_load_dwordx4 v[24:27], v[28:29], off offset:32
	v_addc_co_u32_e32 v53, vcc, 0, v45, vcc
	global_load_dwordx4 v[28:31], v[28:29], off offset:48
	s_nop 0
	global_load_dwordx4 v[44:47], v[52:53], off offset:400
	global_load_dwordx4 v[48:51], v[52:53], off offset:464
	v_mul_u32_u24_e32 v95, 5, v182
	v_mul_lo_u32 v53, s11, v156
	v_mul_lo_u32 v94, s10, v157
	v_mad_u64_u32 v[144:145], s[10:11], s10, v156, 0
	v_lshlrev_b32_e32 v140, 4, v95
	v_sub_u32_e32 v52, 0, v190
	v_add3_u32 v145, v145, v94, v53
	v_lshl_add_u64 v[94:95], s[8:9], 0, v[140:141]
	v_add_u32_e32 v52, v185, v52
	v_lshl_add_u64 v[96:97], v[94:95], 0, s[0:1]
	v_add_co_u32_e32 v94, vcc, s13, v94
	ds_read2_b64 v[58:61], v188 offset0:104 offset1:212
	ds_read2_b64 v[54:57], v189 offset0:32 offset1:140
	;; [unrolled: 1-line block ×5, first 2 shown]
	ds_read_b64 v[52:53], v52
	v_addc_co_u32_e32 v95, vcc, 0, v95, vcc
	global_load_dwordx4 v[104:107], v[96:97], off offset:32
	global_load_dwordx4 v[114:117], v[96:97], off offset:16
	;; [unrolled: 1-line block ×5, first 2 shown]
	v_sub_u32_e32 v148, 0, v192
	s_waitcnt vmcnt(9) lgkmcnt(5)
	v_mul_f64 v[96:97], v[22:23], v[58:59]
	v_mul_f64 v[58:59], v[20:21], v[58:59]
	s_waitcnt vmcnt(8) lgkmcnt(2)
	v_mul_f64 v[98:99], v[26:27], v[88:89]
	v_mul_f64 v[88:89], v[24:25], v[88:89]
	v_fma_f64 v[96:97], v[8:9], v[20:21], -v[96:97]
	s_waitcnt vmcnt(7)
	v_mul_f64 v[20:21], v[30:31], v[54:55]
	v_fmac_f64_e32 v[58:59], v[8:9], v[22:23]
	v_mul_f64 v[8:9], v[28:29], v[54:55]
	s_waitcnt vmcnt(6)
	v_mul_f64 v[22:23], v[46:47], v[84:85]
	v_fma_f64 v[54:55], v[72:73], v[24:25], -v[98:99]
	s_waitcnt vmcnt(5) lgkmcnt(1)
	v_mul_f64 v[24:25], v[50:51], v[92:93]
	v_fmac_f64_e32 v[88:89], v[72:73], v[26:27]
	v_mul_f64 v[26:27], v[48:49], v[92:93]
	v_mul_f64 v[72:73], v[44:45], v[84:85]
	v_fma_f64 v[28:29], v[4:5], v[28:29], -v[20:21]
	v_fmac_f64_e32 v[8:9], v[4:5], v[30:31]
	v_fma_f64 v[4:5], v[64:65], v[44:45], -v[22:23]
	v_fma_f64 v[44:45], v[68:69], v[48:49], -v[24:25]
	v_fmac_f64_e32 v[26:27], v[68:69], v[50:51]
	v_fmac_f64_e32 v[72:73], v[64:65], v[46:47]
	s_waitcnt lgkmcnt(0)
	v_add_f64 v[20:21], v[58:59], v[52:53]
	v_add_f64 v[24:25], v[58:59], v[8:9]
	;; [unrolled: 1-line block ×4, first 2 shown]
	v_add_f64 v[46:47], v[88:89], -v[26:27]
	v_add_f64 v[48:49], v[54:55], -v[44:45]
	v_add_f64 v[64:65], v[8:9], v[20:21]
	v_add_f64 v[20:21], v[72:73], v[88:89]
	;; [unrolled: 1-line block ×3, first 2 shown]
	v_fma_f64 v[52:53], -0.5, v[24:25], v[52:53]
	v_fma_f64 v[24:25], -0.5, v[30:31], v[4:5]
	;; [unrolled: 1-line block ×3, first 2 shown]
	v_add_f64 v[8:9], v[58:59], -v[8:9]
	v_add_f64 v[58:59], v[20:21], v[26:27]
	v_fma_f64 v[68:69], -0.5, v[68:69], v[108:109]
	v_fma_f64 v[20:21], s[4:5], v[46:47], v[24:25]
	v_fma_f64 v[84:85], s[2:3], v[48:49], v[50:51]
	v_fmac_f64_e32 v[50:51], s[4:5], v[48:49]
	v_fmac_f64_e32 v[24:25], s[2:3], v[46:47]
	v_fma_f64 v[48:49], s[4:5], v[8:9], v[68:69]
	v_mul_f64 v[92:93], v[20:21], -0.5
	v_fmac_f64_e32 v[68:69], s[2:3], v[8:9]
	v_mul_f64 v[8:9], v[50:51], s[2:3]
	v_mul_f64 v[46:47], v[84:85], -0.5
	v_fmac_f64_e32 v[92:93], s[2:3], v[84:85]
	v_fmac_f64_e32 v[8:9], 0.5, v[24:25]
	v_add_f64 v[4:5], v[4:5], v[54:55]
	v_mul_f64 v[88:89], v[24:25], s[4:5]
	v_fmac_f64_e32 v[46:47], s[4:5], v[20:21]
	v_add_f64 v[20:21], v[48:49], -v[92:93]
	v_add_f64 v[24:25], v[68:69], -v[8:9]
	v_add_f64 v[4:5], v[4:5], v[44:45]
	v_add_f64 v[44:45], v[48:49], v[92:93]
	;; [unrolled: 1-line block ×3, first 2 shown]
	v_mul_u32_u24_e32 v8, 5, v179
	v_lshlrev_b32_e32 v140, 4, v8
	v_lshl_add_u64 v[8:9], s[8:9], 0, v[140:141]
	v_add_f64 v[30:31], v[64:65], -v[58:59]
	v_add_f64 v[54:55], v[64:65], v[58:59]
	v_lshl_add_u64 v[58:59], v[8:9], 0, s[0:1]
	v_add_f64 v[22:23], v[96:97], -v[28:29]
	v_fmac_f64_e32 v[88:89], 0.5, v[50:51]
	v_add_f64 v[50:51], v[108:109], v[96:97]
	ds_read2_b64 v[96:99], v183 offset0:16 offset1:124
	ds_read2_b64 v[92:95], v184 offset0:72 offset1:180
	global_load_dwordx4 v[126:129], v[58:59], off offset:16
	global_load_dwordx4 v[136:139], v[58:59], off offset:32
	;; [unrolled: 1-line block ×3, first 2 shown]
	v_add_co_u32_e32 v8, vcc, s13, v8
	v_fma_f64 v[72:73], s[2:3], v[22:23], v[52:53]
	s_nop 0
	v_addc_co_u32_e32 v9, vcc, 0, v9, vcc
	global_load_dwordx4 v[108:111], v[8:9], off offset:400
	global_load_dwordx4 v[156:159], v[8:9], off offset:464
	v_fmac_f64_e32 v[52:53], s[4:5], v[22:23]
	v_add_f64 v[22:23], v[72:73], -v[46:47]
	v_add_f64 v[84:85], v[50:51], v[28:29]
	v_add_f64 v[46:47], v[72:73], v[46:47]
	ds_read_b64 v[72:73], v181
	v_add_f64 v[26:27], v[52:53], -v[88:89]
	v_add_f64 v[28:29], v[84:85], -v[4:5]
	v_add_f64 v[50:51], v[52:53], v[88:89]
	v_add_f64 v[52:53], v[84:85], v[4:5]
	s_waitcnt vmcnt(8) lgkmcnt(2)
	v_mul_f64 v[4:5], v[116:117], v[98:99]
	v_mul_f64 v[98:99], v[114:115], v[98:99]
	v_fma_f64 v[84:85], v[80:81], v[114:115], -v[4:5]
	v_fmac_f64_e32 v[98:99], v[80:81], v[116:117]
	s_waitcnt vmcnt(6) lgkmcnt(1)
	v_mul_f64 v[80:81], v[118:119], v[94:95]
	v_fmac_f64_e32 v[80:81], v[76:77], v[120:121]
	v_mul_f64 v[4:5], v[120:121], v[94:95]
	v_add_f64 v[64:65], v[98:99], v[80:81]
	v_fma_f64 v[88:89], v[76:77], v[118:119], -v[4:5]
	ds_read_b64 v[4:5], v180
	s_waitcnt lgkmcnt(1)
	v_fma_f64 v[76:77], -0.5, v[64:65], v[72:73]
	v_mul_f64 v[64:65], v[102:103], v[82:83]
	v_fma_f64 v[114:115], v[62:63], v[100:101], -v[64:65]
	v_mul_f64 v[64:65], v[106:107], v[86:87]
	v_fma_f64 v[116:117], v[70:71], v[104:105], -v[64:65]
	s_waitcnt vmcnt(5)
	v_mul_f64 v[64:65], v[124:125], v[90:91]
	v_mul_f64 v[8:9], v[104:105], v[86:87]
	v_fma_f64 v[118:119], v[66:67], v[122:123], -v[64:65]
	v_fmac_f64_e32 v[8:9], v[70:71], v[106:107]
	v_mul_f64 v[70:71], v[122:123], v[90:91]
	v_add_f64 v[64:65], v[116:117], v[118:119]
	v_fmac_f64_e32 v[70:71], v[66:67], v[124:125]
	v_mul_f64 v[82:83], v[100:101], v[82:83]
	v_fma_f64 v[58:59], -0.5, v[64:65], v[114:115]
	v_add_f64 v[66:67], v[8:9], -v[70:71]
	v_fmac_f64_e32 v[82:83], v[62:63], v[102:103]
	v_add_f64 v[62:63], v[8:9], v[70:71]
	v_fma_f64 v[86:87], s[4:5], v[66:67], v[58:59]
	v_add_f64 v[90:91], v[116:117], -v[118:119]
	v_fma_f64 v[100:101], -0.5, v[62:63], v[82:83]
	v_fmac_f64_e32 v[58:59], s[2:3], v[66:67]
	v_add_f64 v[68:69], v[84:85], -v[88:89]
	v_fma_f64 v[62:63], s[2:3], v[90:91], v[100:101]
	v_fmac_f64_e32 v[100:101], s[4:5], v[90:91]
	v_mul_f64 v[90:91], v[58:59], s[4:5]
	v_add_f64 v[66:67], v[98:99], v[72:73]
	v_fma_f64 v[94:95], s[2:3], v[68:69], v[76:77]
	v_mul_f64 v[102:103], v[62:63], -0.5
	v_fmac_f64_e32 v[76:77], s[4:5], v[68:69]
	v_fmac_f64_e32 v[90:91], 0.5, v[100:101]
	v_add_f64 v[104:105], v[80:81], v[66:67]
	v_add_f64 v[66:67], v[84:85], v[88:89]
	v_fmac_f64_e32 v[102:103], s[4:5], v[86:87]
	v_add_f64 v[68:69], v[76:77], -v[90:91]
	v_fma_f64 v[106:107], -0.5, v[66:67], v[112:113]
	v_add_f64 v[66:67], v[98:99], -v[80:81]
	v_mul_f64 v[98:99], v[86:87], -0.5
	v_add_f64 v[86:87], v[76:77], v[90:91]
	v_mul_u32_u24_e32 v76, 5, v168
	v_lshlrev_b32_e32 v140, 4, v76
	v_add_f64 v[8:9], v[82:83], v[8:9]
	v_mul_f64 v[100:101], v[100:101], s[2:3]
	v_lshl_add_u64 v[76:77], s[8:9], 0, v[140:141]
	v_add_f64 v[64:65], v[94:95], -v[102:103]
	v_add_f64 v[8:9], v[8:9], v[70:71]
	v_fmac_f64_e32 v[100:101], 0.5, v[58:59]
	v_add_f64 v[58:59], v[112:113], v[84:85]
	v_add_f64 v[70:71], v[114:115], v[116:117]
	v_add_f64 v[82:83], v[94:95], v[102:103]
	v_lshl_add_u64 v[94:95], v[76:77], 0, s[0:1]
	v_add_co_u32_e32 v76, vcc, s13, v76
	v_add_f64 v[58:59], v[58:59], v[88:89]
	v_add_f64 v[88:89], v[70:71], v[118:119]
	v_addc_co_u32_e32 v77, vcc, 0, v77, vcc
	global_load_dwordx4 v[116:119], v[94:95], off offset:32
	global_load_dwordx4 v[160:163], v[94:95], off offset:16
	;; [unrolled: 1-line block ×4, first 2 shown]
	v_add_f64 v[72:73], v[104:105], -v[8:9]
	v_add_f64 v[90:91], v[104:105], v[8:9]
	s_waitcnt vmcnt(8)
	v_mul_f64 v[8:9], v[128:129], v[96:97]
	ds_read2_b64 v[120:123], v164 offset0:136 offset1:244
	v_fma_f64 v[8:9], v[78:79], v[126:127], -v[8:9]
	v_mul_f64 v[96:97], v[126:127], v[96:97]
	ds_read2_b64 v[124:127], v178 offset0:64 offset1:172
	v_fmac_f64_e32 v[96:97], v[78:79], v[128:129]
	s_waitcnt vmcnt(6)
	v_mul_f64 v[78:79], v[150:151], v[92:93]
	ds_read2_b64 v[128:131], v177 offset0:120 offset1:228
	v_add_f64 v[70:71], v[58:59], -v[88:89]
	v_add_f64 v[88:89], v[58:59], v[88:89]
	v_mul_f64 v[58:59], v[152:153], v[92:93]
	v_fmac_f64_e32 v[78:79], v[74:75], v[152:153]
	v_fma_f64 v[80:81], s[4:5], v[66:67], v[106:107]
	v_fmac_f64_e32 v[106:107], s[2:3], v[66:67]
	v_fma_f64 v[58:59], v[74:75], v[150:151], -v[58:59]
	v_add_f64 v[74:75], v[96:97], v[78:79]
	v_add_f64 v[66:67], v[106:107], -v[100:101]
	v_add_f64 v[84:85], v[106:107], v[100:101]
	s_waitcnt lgkmcnt(3)
	v_fma_f64 v[100:101], -0.5, v[74:75], v[4:5]
	s_waitcnt vmcnt(5) lgkmcnt(2)
	v_mul_f64 v[74:75], v[110:111], v[122:123]
	v_fma_f64 v[104:105], v[34:35], v[108:109], -v[74:75]
	s_waitcnt lgkmcnt(1)
	v_mul_f64 v[74:75], v[138:139], v[126:127]
	v_fma_f64 v[106:107], v[42:43], v[136:137], -v[74:75]
	s_waitcnt vmcnt(4) lgkmcnt(0)
	v_mul_f64 v[74:75], v[158:159], v[130:131]
	v_fma_f64 v[164:165], v[38:39], v[156:157], -v[74:75]
	v_add_f64 v[74:75], v[106:107], v[164:165]
	v_fma_f64 v[92:93], -0.5, v[74:75], v[104:105]
	v_mul_f64 v[74:75], v[136:137], v[126:127]
	global_load_dwordx4 v[150:153], v[76:77], off offset:464
	v_fmac_f64_e32 v[74:75], v[42:43], v[138:139]
	v_mul_f64 v[42:43], v[156:157], v[130:131]
	v_fmac_f64_e32 v[42:43], v[38:39], v[158:159]
	v_mul_f64 v[108:109], v[108:109], v[122:123]
	v_fmac_f64_e32 v[98:99], s[2:3], v[62:63]
	v_fmac_f64_e32 v[108:109], v[34:35], v[110:111]
	v_add_f64 v[34:35], v[74:75], v[42:43]
	v_add_f64 v[62:63], v[80:81], -v[98:99]
	v_add_f64 v[80:81], v[80:81], v[98:99]
	v_add_f64 v[98:99], v[106:107], -v[164:165]
	v_fma_f64 v[34:35], -0.5, v[34:35], v[108:109]
	v_add_f64 v[38:39], v[74:75], -v[42:43]
	v_fma_f64 v[110:111], s[2:3], v[98:99], v[34:35]
	v_fma_f64 v[126:127], s[4:5], v[38:39], v[92:93]
	v_mul_f64 v[122:123], v[110:111], -0.5
	v_add_f64 v[4:5], v[96:97], v[4:5]
	v_add_f64 v[74:75], v[108:109], v[74:75]
	v_fmac_f64_e32 v[122:123], s[4:5], v[126:127]
	v_fmac_f64_e32 v[92:93], s[2:3], v[38:39]
	v_add_f64 v[4:5], v[78:79], v[4:5]
	v_add_f64 v[42:43], v[74:75], v[42:43]
	v_mul_f64 v[126:127], v[126:127], -0.5
	v_fmac_f64_e32 v[34:35], s[4:5], v[98:99]
	v_mul_f64 v[38:39], v[92:93], s[4:5]
	v_add_f64 v[98:99], v[4:5], -v[42:43]
	v_add_f64 v[74:75], v[8:9], v[58:59]
	v_fmac_f64_e32 v[126:127], s[2:3], v[110:111]
	v_add_f64 v[110:111], v[4:5], v[42:43]
	v_mul_u32_u24_e32 v4, 5, v172
	v_fmac_f64_e32 v[38:39], 0.5, v[34:35]
	v_fma_f64 v[108:109], -0.5, v[74:75], v[146:147]
	v_add_f64 v[78:79], v[96:97], -v[78:79]
	v_mul_f64 v[34:35], v[34:35], s[2:3]
	v_lshlrev_b32_e32 v140, 4, v4
	v_add_f64 v[94:95], v[8:9], -v[58:59]
	v_fma_f64 v[130:131], s[4:5], v[78:79], v[108:109]
	v_fmac_f64_e32 v[108:109], s[2:3], v[78:79]
	v_fmac_f64_e32 v[34:35], 0.5, v[92:93]
	v_add_f64 v[8:9], v[146:147], v[8:9]
	v_lshl_add_u64 v[4:5], s[8:9], 0, v[140:141]
	v_add_f64 v[92:93], v[108:109], -v[34:35]
	v_add_f64 v[8:9], v[8:9], v[58:59]
	v_add_f64 v[58:59], v[104:105], v[106:107]
	;; [unrolled: 1-line block ×3, first 2 shown]
	v_lshl_add_u64 v[34:35], v[4:5], 0, s[0:1]
	global_load_dwordx4 v[168:171], v[34:35], off offset:48
	global_load_dwordx4 v[156:159], v[34:35], off offset:16
	;; [unrolled: 1-line block ×3, first 2 shown]
	ds_read2_b64 v[136:139], v176 offset0:56 offset1:164
	v_add_co_u32_e32 v4, vcc, s13, v4
	v_add_f64 v[58:59], v[58:59], v[164:165]
	s_nop 0
	v_addc_co_u32_e32 v5, vcc, 0, v5, vcc
	global_load_dwordx4 v[178:181], v[4:5], off offset:400
	v_add_f64 v[96:97], v[8:9], -v[58:59]
	v_add_f64 v[108:109], v[8:9], v[58:59]
	s_waitcnt vmcnt(7) lgkmcnt(0)
	v_mul_f64 v[8:9], v[162:163], v[138:139]
	v_mul_f64 v[58:59], v[160:161], v[138:139]
	v_fma_f64 v[8:9], v[18:19], v[160:161], -v[8:9]
	v_fmac_f64_e32 v[58:59], v[18:19], v[162:163]
	global_load_dwordx4 v[160:163], v[4:5], off offset:464
	ds_read2_b64 v[164:167], v175 offset0:112 offset1:220
	ds_read2_b64 v[174:177], v174 offset1:108
	v_fma_f64 v[102:103], s[2:3], v[94:95], v[100:101]
	v_fmac_f64_e32 v[100:101], s[4:5], v[94:95]
	v_add_f64 v[94:95], v[100:101], -v[38:39]
	s_waitcnt vmcnt(6) lgkmcnt(1)
	v_mul_f64 v[18:19], v[132:133], v[166:167]
	v_fmac_f64_e32 v[18:19], v[14:15], v[134:135]
	v_add_f64 v[106:107], v[100:101], v[38:39]
	v_mul_f64 v[38:39], v[134:135], v[166:167]
	v_add_f64 v[4:5], v[58:59], v[18:19]
	v_fma_f64 v[42:43], v[14:15], v[132:133], -v[38:39]
	s_waitcnt lgkmcnt(0)
	v_fma_f64 v[14:15], -0.5, v[4:5], v[176:177]
	v_mul_f64 v[4:5], v[114:115], v[120:121]
	v_add_f64 v[76:77], v[102:103], -v[122:123]
	v_add_f64 v[102:103], v[102:103], v[122:123]
	v_fma_f64 v[122:123], v[32:33], v[112:113], -v[4:5]
	v_mul_f64 v[4:5], v[118:119], v[124:125]
	v_add_f64 v[74:75], v[130:131], -v[126:127]
	v_add_f64 v[100:101], v[130:131], v[126:127]
	v_fma_f64 v[126:127], v[40:41], v[116:117], -v[4:5]
	s_waitcnt vmcnt(5)
	v_mul_f64 v[4:5], v[152:153], v[128:129]
	v_fma_f64 v[130:131], v[36:37], v[150:151], -v[4:5]
	v_add_f64 v[4:5], v[126:127], v[130:131]
	v_fma_f64 v[132:133], -0.5, v[4:5], v[122:123]
	v_mul_f64 v[4:5], v[116:117], v[124:125]
	v_fmac_f64_e32 v[4:5], v[40:41], v[118:119]
	v_mul_f64 v[40:41], v[150:151], v[128:129]
	v_fmac_f64_e32 v[40:41], v[36:37], v[152:153]
	v_mul_f64 v[112:113], v[112:113], v[120:121]
	v_add_f64 v[36:37], v[4:5], -v[40:41]
	v_fmac_f64_e32 v[112:113], v[32:33], v[114:115]
	v_add_f64 v[32:33], v[4:5], v[40:41]
	v_fma_f64 v[116:117], s[4:5], v[36:37], v[132:133]
	v_add_f64 v[118:119], v[126:127], -v[130:131]
	v_fma_f64 v[114:115], -0.5, v[32:33], v[112:113]
	v_fmac_f64_e32 v[132:133], s[2:3], v[36:37]
	v_add_f64 v[36:37], v[58:59], v[176:177]
	v_fma_f64 v[32:33], s[2:3], v[118:119], v[114:115]
	v_add_f64 v[124:125], v[18:19], v[36:37]
	v_add_f64 v[36:37], v[8:9], v[42:43]
	v_mul_f64 v[120:121], v[32:33], -0.5
	v_add_f64 v[4:5], v[112:113], v[4:5]
	v_fma_f64 v[112:113], -0.5, v[36:37], v[2:3]
	v_add_f64 v[2:3], v[2:3], v[8:9]
	v_add_f64 v[38:39], v[8:9], -v[42:43]
	v_fmac_f64_e32 v[120:121], s[4:5], v[116:117]
	v_fmac_f64_e32 v[114:115], s[4:5], v[118:119]
	v_mul_f64 v[118:119], v[132:133], s[4:5]
	v_add_f64 v[18:19], v[58:59], -v[18:19]
	v_mul_f64 v[116:117], v[116:117], -0.5
	v_add_f64 v[8:9], v[2:3], v[42:43]
	v_add_f64 v[2:3], v[122:123], v[126:127]
	v_fma_f64 v[78:79], s[2:3], v[38:39], v[14:15]
	v_fmac_f64_e32 v[14:15], s[4:5], v[38:39]
	v_fmac_f64_e32 v[118:119], 0.5, v[114:115]
	v_add_f64 v[40:41], v[4:5], v[40:41]
	v_fma_f64 v[58:59], s[4:5], v[18:19], v[112:113]
	v_fmac_f64_e32 v[116:117], s[2:3], v[32:33]
	v_add_f64 v[122:123], v[2:3], v[130:131]
	v_add_f64 v[38:39], v[14:15], -v[118:119]
	v_add_f64 v[4:5], v[124:125], -v[40:41]
	;; [unrolled: 1-line block ×3, first 2 shown]
	v_fmac_f64_e32 v[112:113], s[2:3], v[18:19]
	v_mul_f64 v[18:19], v[114:115], s[2:3]
	v_add_f64 v[2:3], v[8:9], -v[122:123]
	v_add_f64 v[114:115], v[14:15], v[118:119]
	v_add_f64 v[118:119], v[124:125], v[40:41]
	v_add_f64 v[40:41], v[58:59], v[116:117]
	v_add_f64 v[116:117], v[8:9], v[122:123]
	s_waitcnt vmcnt(3)
	v_mul_f64 v[8:9], v[158:159], v[136:137]
	v_fmac_f64_e32 v[18:19], 0.5, v[132:133]
	v_fma_f64 v[14:15], v[16:17], v[156:157], -v[8:9]
	v_mul_f64 v[8:9], v[170:171], v[164:165]
	v_add_f64 v[36:37], v[112:113], -v[18:19]
	v_add_f64 v[112:113], v[112:113], v[18:19]
	v_fma_f64 v[18:19], v[12:13], v[168:169], -v[8:9]
	v_add_u32_e32 v8, v173, v148
	ds_read_b64 v[8:9], v8
	v_add_f64 v[34:35], v[78:79], -v[120:121]
	v_add_f64 v[42:43], v[78:79], v[120:121]
	v_mul_f64 v[78:79], v[156:157], v[136:137]
	v_mul_f64 v[120:121], v[168:169], v[164:165]
	v_fmac_f64_e32 v[78:79], v[16:17], v[158:159]
	v_fmac_f64_e32 v[120:121], v[12:13], v[170:171]
	v_add_f64 v[12:13], v[78:79], v[120:121]
	v_fma_f64 v[122:123], -0.5, v[12:13], v[174:175]
	s_waitcnt vmcnt(1) lgkmcnt(0)
	v_mul_f64 v[12:13], v[180:181], v[8:9]
	v_fma_f64 v[126:127], v[142:143], v[178:179], -v[12:13]
	v_mul_f64 v[12:13], v[184:185], v[60:61]
	v_fma_f64 v[128:129], v[10:11], v[182:183], -v[12:13]
	s_waitcnt vmcnt(0)
	v_mul_f64 v[12:13], v[162:163], v[56:57]
	v_mul_f64 v[16:17], v[182:183], v[60:61]
	v_fma_f64 v[130:131], v[6:7], v[160:161], -v[12:13]
	v_fmac_f64_e32 v[16:17], v[10:11], v[184:185]
	v_mul_f64 v[10:11], v[160:161], v[56:57]
	v_add_f64 v[12:13], v[128:129], v[130:131]
	v_fmac_f64_e32 v[10:11], v[6:7], v[162:163]
	v_fma_f64 v[132:133], -0.5, v[12:13], v[126:127]
	v_add_f64 v[6:7], v[16:17], -v[10:11]
	v_mul_f64 v[60:61], v[178:179], v[8:9]
	v_fma_f64 v[56:57], s[4:5], v[6:7], v[132:133]
	v_fmac_f64_e32 v[60:61], v[142:143], v[180:181]
	v_add_f64 v[8:9], v[16:17], v[10:11]
	v_fmac_f64_e32 v[132:133], s[2:3], v[6:7]
	v_add_f64 v[6:7], v[78:79], v[174:175]
	v_add_f64 v[12:13], v[128:129], -v[130:131]
	v_fma_f64 v[134:135], -0.5, v[8:9], v[60:61]
	v_add_f64 v[146:147], v[120:121], v[6:7]
	v_add_f64 v[6:7], v[60:61], v[16:17]
	v_fma_f64 v[136:137], s[2:3], v[12:13], v[134:135]
	v_add_f64 v[60:61], v[6:7], v[10:11]
	v_add_f64 v[6:7], v[14:15], v[18:19]
	v_add_f64 v[58:59], v[14:15], -v[18:19]
	v_mul_f64 v[138:139], v[136:137], -0.5
	v_fma_f64 v[148:149], -0.5, v[6:7], v[0:1]
	v_add_f64 v[0:1], v[0:1], v[14:15]
	v_add_f64 v[14:15], v[126:127], v[128:129]
	v_fma_f64 v[124:125], s[2:3], v[58:59], v[122:123]
	v_fmac_f64_e32 v[138:139], s[4:5], v[56:57]
	v_add_f64 v[0:1], v[0:1], v[18:19]
	v_add_f64 v[18:19], v[14:15], v[130:131]
	s_mov_b32 s0, 0xf2b9d649
	v_add_f64 v[8:9], v[124:125], -v[138:139]
	v_fmac_f64_e32 v[122:123], s[4:5], v[58:59]
	v_add_f64 v[14:15], v[0:1], -v[18:19]
	v_add_f64 v[58:59], v[124:125], v[138:139]
	v_add_f64 v[124:125], v[0:1], v[18:19]
	v_mul_hi_u32 v0, v172, s0
	v_lshrrev_b32_e32 v0, 9, v0
	v_mul_u32_u24_e32 v0, 0x21c, v0
	v_sub_u32_e32 v18, v172, v0
	v_lshl_add_u64 v[0:1], v[144:145], 4, s[6:7]
	v_fmac_f64_e32 v[134:135], s[4:5], v[12:13]
	v_lshl_add_u64 v[0:1], v[154:155], 4, v[0:1]
	v_lshlrev_b32_e32 v140, 4, v18
	v_mul_f64 v[142:143], v[132:133], s[4:5]
	v_add_f64 v[10:11], v[78:79], -v[120:121]
	v_mul_f64 v[120:121], v[134:135], s[2:3]
	v_lshl_add_u64 v[18:19], v[0:1], 0, v[140:141]
	v_fmac_f64_e32 v[142:143], 0.5, v[134:135]
	v_add_f64 v[16:17], v[146:147], -v[60:61]
	v_fma_f64 v[78:79], s[4:5], v[10:11], v[148:149]
	v_fmac_f64_e32 v[148:149], s[2:3], v[10:11]
	v_fmac_f64_e32 v[120:121], 0.5, v[132:133]
	v_add_f64 v[126:127], v[146:147], v[60:61]
	v_add_co_u32_e32 v60, vcc, s13, v18
	v_add_f64 v[12:13], v[122:123], -v[142:143]
	v_mul_f64 v[56:57], v[56:57], -0.5
	v_add_f64 v[10:11], v[148:149], -v[120:121]
	v_add_f64 v[122:123], v[122:123], v[142:143]
	v_add_f64 v[120:121], v[148:149], v[120:121]
	v_addc_co_u32_e32 v61, vcc, 0, v19, vcc
	v_fmac_f64_e32 v[56:57], s[2:3], v[136:137]
	global_store_dwordx4 v[60:61], v[120:123], off offset:448
	v_add_co_u32_e32 v60, vcc, s12, v18
	v_add_f64 v[6:7], v[78:79], -v[56:57]
	v_add_f64 v[56:57], v[78:79], v[56:57]
	v_addc_co_u32_e32 v61, vcc, 0, v19, vcc
	s_movk_i32 s1, 0x6000
	global_store_dwordx4 v[60:61], v[56:59], off offset:896
	global_store_dwordx4 v[18:19], v[124:127], off
	s_nop 0
	v_add_co_u32_e32 v56, vcc, s1, v18
	s_mov_b32 s1, 0x8000
	s_nop 0
	v_addc_co_u32_e32 v57, vcc, 0, v19, vcc
	global_store_dwordx4 v[56:57], v[14:17], off offset:1344
	s_nop 1
	v_add_co_u32_e32 v14, vcc, s1, v18
	s_mov_b32 s1, 0xa000
	s_nop 0
	v_addc_co_u32_e32 v15, vcc, 0, v19, vcc
	global_store_dwordx4 v[14:15], v[10:13], off offset:1792
	s_nop 1
	v_add_co_u32_e32 v10, vcc, s1, v18
	s_movk_i32 s1, 0xca8
	s_nop 0
	v_addc_co_u32_e32 v11, vcc, 0, v19, vcc
	global_store_dwordx4 v[10:11], v[6:9], off offset:2240
	s_nop 1
	v_add_u32_e32 v6, 0x6c, v172
	v_mul_hi_u32 v7, v6, s0
	v_lshrrev_b32_e32 v7, 9, v7
	v_mul_u32_u24_e32 v8, 0x21c, v7
	v_sub_u32_e32 v6, v6, v8
	v_mad_u32_u24 v140, v7, s1, v6
	v_lshl_add_u64 v[6:7], v[140:141], 4, v[0:1]
	global_store_dwordx4 v[6:7], v[116:119], off
	v_add_u32_e32 v6, 0x21c, v140
	v_mov_b32_e32 v7, v141
	v_lshl_add_u64 v[6:7], v[6:7], 4, v[0:1]
	global_store_dwordx4 v[6:7], v[112:115], off
	v_add_u32_e32 v6, 0x438, v140
	v_mov_b32_e32 v7, v141
	;; [unrolled: 4-line block ×3, first 2 shown]
	v_lshl_add_u64 v[6:7], v[6:7], 4, v[0:1]
	global_store_dwordx4 v[6:7], v[2:5], off
	s_nop 1
	v_add_u32_e32 v2, 0x870, v140
	v_mov_b32_e32 v3, v141
	v_lshl_add_u64 v[2:3], v[2:3], 4, v[0:1]
	v_add_u32_e32 v140, 0xa8c, v140
	global_store_dwordx4 v[2:3], v[36:39], off
	v_lshl_add_u64 v[2:3], v[140:141], 4, v[0:1]
	global_store_dwordx4 v[2:3], v[32:35], off
	v_add_u32_e32 v2, 0xd8, v172
	v_mul_hi_u32 v3, v2, s0
	v_lshrrev_b32_e32 v3, 9, v3
	v_mul_u32_u24_e32 v4, 0x21c, v3
	v_sub_u32_e32 v2, v2, v4
	v_mad_u32_u24 v140, v3, s1, v2
	v_lshl_add_u64 v[2:3], v[140:141], 4, v[0:1]
	global_store_dwordx4 v[2:3], v[108:111], off
	v_add_u32_e32 v2, 0x21c, v140
	v_mov_b32_e32 v3, v141
	v_lshl_add_u64 v[2:3], v[2:3], 4, v[0:1]
	global_store_dwordx4 v[2:3], v[104:107], off
	v_add_u32_e32 v2, 0x438, v140
	v_mov_b32_e32 v3, v141
	v_lshl_add_u64 v[2:3], v[2:3], 4, v[0:1]
	global_store_dwordx4 v[2:3], v[100:103], off
	v_add_u32_e32 v2, 0x654, v140
	v_mov_b32_e32 v3, v141
	v_lshl_add_u64 v[2:3], v[2:3], 4, v[0:1]
	global_store_dwordx4 v[2:3], v[96:99], off
	v_add_u32_e32 v2, 0x870, v140
	v_mov_b32_e32 v3, v141
	v_lshl_add_u64 v[2:3], v[2:3], 4, v[0:1]
	v_add_u32_e32 v140, 0xa8c, v140
	global_store_dwordx4 v[2:3], v[92:95], off
	v_lshl_add_u64 v[2:3], v[140:141], 4, v[0:1]
	global_store_dwordx4 v[2:3], v[74:77], off
	v_add_u32_e32 v2, 0x144, v172
	v_mul_hi_u32 v3, v2, s0
	v_lshrrev_b32_e32 v3, 9, v3
	v_mul_u32_u24_e32 v4, 0x21c, v3
	v_sub_u32_e32 v2, v2, v4
	v_mad_u32_u24 v140, v3, s1, v2
	v_lshl_add_u64 v[2:3], v[140:141], 4, v[0:1]
	global_store_dwordx4 v[2:3], v[88:91], off
	v_add_u32_e32 v2, 0x21c, v140
	v_mov_b32_e32 v3, v141
	v_lshl_add_u64 v[2:3], v[2:3], 4, v[0:1]
	global_store_dwordx4 v[2:3], v[84:87], off
	v_add_u32_e32 v2, 0x438, v140
	v_mov_b32_e32 v3, v141
	v_lshl_add_u64 v[2:3], v[2:3], 4, v[0:1]
	global_store_dwordx4 v[2:3], v[80:83], off
	v_add_u32_e32 v2, 0x654, v140
	v_mov_b32_e32 v3, v141
	v_lshl_add_u64 v[2:3], v[2:3], 4, v[0:1]
	global_store_dwordx4 v[2:3], v[70:73], off
	;; [unrolled: 27-line block ×3, first 2 shown]
	v_add_u32_e32 v2, 0x870, v140
	v_mov_b32_e32 v3, v141
	v_add_u32_e32 v140, 0xa8c, v140
	v_lshl_add_u64 v[2:3], v[2:3], 4, v[0:1]
	v_lshl_add_u64 v[0:1], v[140:141], 4, v[0:1]
	global_store_dwordx4 v[2:3], v[24:27], off
	global_store_dwordx4 v[0:1], v[20:23], off
.LBB0_15:
	s_endpgm
	.section	.rodata,"a",@progbits
	.p2align	6, 0x0
	.amdhsa_kernel fft_rtc_fwd_len3240_factors_3_3_10_6_6_wgs_108_tpt_108_halfLds_dp_op_CI_CI_unitstride_sbrr_dirReg
		.amdhsa_group_segment_fixed_size 0
		.amdhsa_private_segment_fixed_size 0
		.amdhsa_kernarg_size 104
		.amdhsa_user_sgpr_count 2
		.amdhsa_user_sgpr_dispatch_ptr 0
		.amdhsa_user_sgpr_queue_ptr 0
		.amdhsa_user_sgpr_kernarg_segment_ptr 1
		.amdhsa_user_sgpr_dispatch_id 0
		.amdhsa_user_sgpr_kernarg_preload_length 0
		.amdhsa_user_sgpr_kernarg_preload_offset 0
		.amdhsa_user_sgpr_private_segment_size 0
		.amdhsa_uses_dynamic_stack 0
		.amdhsa_enable_private_segment 0
		.amdhsa_system_sgpr_workgroup_id_x 1
		.amdhsa_system_sgpr_workgroup_id_y 0
		.amdhsa_system_sgpr_workgroup_id_z 0
		.amdhsa_system_sgpr_workgroup_info 0
		.amdhsa_system_vgpr_workitem_id 0
		.amdhsa_next_free_vgpr 236
		.amdhsa_next_free_sgpr 28
		.amdhsa_accum_offset 236
		.amdhsa_reserve_vcc 1
		.amdhsa_float_round_mode_32 0
		.amdhsa_float_round_mode_16_64 0
		.amdhsa_float_denorm_mode_32 3
		.amdhsa_float_denorm_mode_16_64 3
		.amdhsa_dx10_clamp 1
		.amdhsa_ieee_mode 1
		.amdhsa_fp16_overflow 0
		.amdhsa_tg_split 0
		.amdhsa_exception_fp_ieee_invalid_op 0
		.amdhsa_exception_fp_denorm_src 0
		.amdhsa_exception_fp_ieee_div_zero 0
		.amdhsa_exception_fp_ieee_overflow 0
		.amdhsa_exception_fp_ieee_underflow 0
		.amdhsa_exception_fp_ieee_inexact 0
		.amdhsa_exception_int_div_zero 0
	.end_amdhsa_kernel
	.text
.Lfunc_end0:
	.size	fft_rtc_fwd_len3240_factors_3_3_10_6_6_wgs_108_tpt_108_halfLds_dp_op_CI_CI_unitstride_sbrr_dirReg, .Lfunc_end0-fft_rtc_fwd_len3240_factors_3_3_10_6_6_wgs_108_tpt_108_halfLds_dp_op_CI_CI_unitstride_sbrr_dirReg
                                        ; -- End function
	.section	.AMDGPU.csdata,"",@progbits
; Kernel info:
; codeLenInByte = 19208
; NumSgprs: 34
; NumVgprs: 236
; NumAgprs: 0
; TotalNumVgprs: 236
; ScratchSize: 0
; MemoryBound: 1
; FloatMode: 240
; IeeeMode: 1
; LDSByteSize: 0 bytes/workgroup (compile time only)
; SGPRBlocks: 4
; VGPRBlocks: 29
; NumSGPRsForWavesPerEU: 34
; NumVGPRsForWavesPerEU: 236
; AccumOffset: 236
; Occupancy: 2
; WaveLimiterHint : 1
; COMPUTE_PGM_RSRC2:SCRATCH_EN: 0
; COMPUTE_PGM_RSRC2:USER_SGPR: 2
; COMPUTE_PGM_RSRC2:TRAP_HANDLER: 0
; COMPUTE_PGM_RSRC2:TGID_X_EN: 1
; COMPUTE_PGM_RSRC2:TGID_Y_EN: 0
; COMPUTE_PGM_RSRC2:TGID_Z_EN: 0
; COMPUTE_PGM_RSRC2:TIDIG_COMP_CNT: 0
; COMPUTE_PGM_RSRC3_GFX90A:ACCUM_OFFSET: 58
; COMPUTE_PGM_RSRC3_GFX90A:TG_SPLIT: 0
	.text
	.p2alignl 6, 3212836864
	.fill 256, 4, 3212836864
	.type	__hip_cuid_b19d742ef854fe00,@object ; @__hip_cuid_b19d742ef854fe00
	.section	.bss,"aw",@nobits
	.globl	__hip_cuid_b19d742ef854fe00
__hip_cuid_b19d742ef854fe00:
	.byte	0                               ; 0x0
	.size	__hip_cuid_b19d742ef854fe00, 1

	.ident	"AMD clang version 19.0.0git (https://github.com/RadeonOpenCompute/llvm-project roc-6.4.0 25133 c7fe45cf4b819c5991fe208aaa96edf142730f1d)"
	.section	".note.GNU-stack","",@progbits
	.addrsig
	.addrsig_sym __hip_cuid_b19d742ef854fe00
	.amdgpu_metadata
---
amdhsa.kernels:
  - .agpr_count:     0
    .args:
      - .actual_access:  read_only
        .address_space:  global
        .offset:         0
        .size:           8
        .value_kind:     global_buffer
      - .offset:         8
        .size:           8
        .value_kind:     by_value
      - .actual_access:  read_only
        .address_space:  global
        .offset:         16
        .size:           8
        .value_kind:     global_buffer
      - .actual_access:  read_only
        .address_space:  global
        .offset:         24
        .size:           8
        .value_kind:     global_buffer
      - .actual_access:  read_only
        .address_space:  global
        .offset:         32
        .size:           8
        .value_kind:     global_buffer
      - .offset:         40
        .size:           8
        .value_kind:     by_value
      - .actual_access:  read_only
        .address_space:  global
        .offset:         48
        .size:           8
        .value_kind:     global_buffer
      - .actual_access:  read_only
        .address_space:  global
        .offset:         56
        .size:           8
        .value_kind:     global_buffer
      - .offset:         64
        .size:           4
        .value_kind:     by_value
      - .actual_access:  read_only
        .address_space:  global
        .offset:         72
        .size:           8
        .value_kind:     global_buffer
      - .actual_access:  read_only
        .address_space:  global
        .offset:         80
        .size:           8
        .value_kind:     global_buffer
      - .actual_access:  read_only
        .address_space:  global
        .offset:         88
        .size:           8
        .value_kind:     global_buffer
      - .actual_access:  write_only
        .address_space:  global
        .offset:         96
        .size:           8
        .value_kind:     global_buffer
    .group_segment_fixed_size: 0
    .kernarg_segment_align: 8
    .kernarg_segment_size: 104
    .language:       OpenCL C
    .language_version:
      - 2
      - 0
    .max_flat_workgroup_size: 108
    .name:           fft_rtc_fwd_len3240_factors_3_3_10_6_6_wgs_108_tpt_108_halfLds_dp_op_CI_CI_unitstride_sbrr_dirReg
    .private_segment_fixed_size: 0
    .sgpr_count:     34
    .sgpr_spill_count: 0
    .symbol:         fft_rtc_fwd_len3240_factors_3_3_10_6_6_wgs_108_tpt_108_halfLds_dp_op_CI_CI_unitstride_sbrr_dirReg.kd
    .uniform_work_group_size: 1
    .uses_dynamic_stack: false
    .vgpr_count:     236
    .vgpr_spill_count: 0
    .wavefront_size: 64
amdhsa.target:   amdgcn-amd-amdhsa--gfx950
amdhsa.version:
  - 1
  - 2
...

	.end_amdgpu_metadata
